;; amdgpu-corpus repo=ROCm/rocFFT kind=compiled arch=gfx950 opt=O3
	.text
	.amdgcn_target "amdgcn-amd-amdhsa--gfx950"
	.amdhsa_code_object_version 6
	.protected	bluestein_single_fwd_len51_dim1_sp_op_CI_CI ; -- Begin function bluestein_single_fwd_len51_dim1_sp_op_CI_CI
	.globl	bluestein_single_fwd_len51_dim1_sp_op_CI_CI
	.p2align	8
	.type	bluestein_single_fwd_len51_dim1_sp_op_CI_CI,@function
bluestein_single_fwd_len51_dim1_sp_op_CI_CI: ; @bluestein_single_fwd_len51_dim1_sp_op_CI_CI
; %bb.0:
	s_load_dwordx4 s[8:11], s[0:1], 0x28
	v_mul_u32_u24_e32 v1, 0xf10, v0
	v_lshrrev_b32_e32 v2, 16, v1
	v_mad_u64_u32 v[158:159], s[2:3], s2, 15, v[2:3]
	v_mov_b32_e32 v159, 0
	s_waitcnt lgkmcnt(0)
	v_cmp_gt_u64_e32 vcc, s[8:9], v[158:159]
	s_and_saveexec_b64 s[2:3], vcc
	s_cbranch_execz .LBB0_15
; %bb.1:
	v_mul_lo_u16_e32 v1, 17, v2
	s_mov_b32 s2, 0x88888889
	v_sub_u16_e32 v232, v0, v1
	v_mul_hi_u32 v0, v158, s2
	s_load_dwordx2 s[8:9], s[0:1], 0x0
	s_load_dwordx2 s[12:13], s[0:1], 0x38
	v_lshrrev_b32_e32 v0, 3, v0
	v_mul_lo_u32 v0, v0, 15
	v_sub_u32_e32 v0, v158, v0
	v_mul_u32_u24_e32 v231, 51, v0
	v_cmp_gt_u16_e32 vcc, 3, v232
	v_lshlrev_b32_e32 v159, 3, v232
	v_lshlrev_b32_e32 v174, 3, v231
	v_or_b32_e32 v230, 12, v232
	v_or_b32_e32 v175, 24, v232
	;; [unrolled: 1-line block ×4, first 2 shown]
	s_and_saveexec_b64 s[2:3], vcc
	s_cbranch_execz .LBB0_3
; %bb.2:
	s_load_dwordx2 s[4:5], s[0:1], 0x18
	v_mov_b32_e32 v0, s10
	v_mov_b32_e32 v1, s11
	v_lshl_add_u32 v60, v232, 3, v174
	v_add_u32_e32 v61, v174, v159
	s_waitcnt lgkmcnt(0)
	s_load_dwordx4 s[4:7], s[4:5], 0x0
	s_waitcnt lgkmcnt(0)
	v_mad_u64_u32 v[2:3], s[10:11], s6, v158, 0
	v_mad_u64_u32 v[4:5], s[10:11], s4, v232, 0
	v_mov_b32_e32 v6, v3
	v_mov_b32_e32 v8, v5
	v_mad_u64_u32 v[6:7], s[6:7], s7, v158, v[6:7]
	v_mov_b32_e32 v3, v6
	v_mad_u64_u32 v[6:7], s[6:7], s5, v232, v[8:9]
	v_mov_b32_e32 v5, v6
	v_lshl_add_u64 v[0:1], v[2:3], 3, v[0:1]
	v_mad_u64_u32 v[2:3], s[6:7], s4, v230, 0
	v_lshl_add_u64 v[4:5], v[4:5], 3, v[0:1]
	v_mov_b32_e32 v6, v3
	v_mad_u64_u32 v[6:7], s[6:7], s5, v230, v[6:7]
	v_mad_u64_u32 v[12:13], s[6:7], s4, 24, v[4:5]
	s_mul_i32 s6, s5, 24
	s_nop 0
	v_add_u32_e32 v13, s6, v13
	v_mad_u64_u32 v[14:15], s[10:11], s4, 24, v[12:13]
	v_mov_b32_e32 v3, v6
	v_add_u32_e32 v15, s6, v15
	v_lshl_add_u64 v[10:11], v[2:3], 3, v[0:1]
	v_mad_u64_u32 v[16:17], s[10:11], s4, 24, v[14:15]
	global_load_dwordx2 v[2:3], v[4:5], off
	v_add_u32_e32 v17, s6, v17
	global_load_dwordx2 v[18:19], v159, s[8:9]
	global_load_dwordx2 v[20:21], v159, s[8:9] offset:24
	global_load_dwordx2 v[8:9], v159, s[8:9] offset:48
	;; [unrolled: 1-line block ×3, first 2 shown]
	global_load_dwordx2 v[22:23], v[12:13], off
	global_load_dwordx2 v[24:25], v[14:15], off
	;; [unrolled: 1-line block ×3, first 2 shown]
	global_load_dwordx2 v[26:27], v159, s[8:9] offset:96
	global_load_dwordx2 v[28:29], v159, s[8:9] offset:120
	;; [unrolled: 1-line block ×4, first 2 shown]
	global_load_dwordx2 v[34:35], v[10:11], off
	v_mad_u64_u32 v[10:11], s[10:11], s4, v175, 0
	v_mad_u64_u32 v[12:13], s[10:11], s4, v161, 0
	v_mov_b32_e32 v14, v11
	v_mov_b32_e32 v36, v13
	v_mad_u64_u32 v[14:15], s[10:11], s5, v175, v[14:15]
	v_mad_u64_u32 v[36:37], s[10:11], s5, v161, v[36:37]
	v_mov_b32_e32 v11, v14
	v_mov_b32_e32 v13, v36
	v_lshl_add_u64 v[10:11], v[10:11], 3, v[0:1]
	s_mul_i32 s7, s5, 48
	v_lshl_add_u64 v[12:13], v[12:13], 3, v[0:1]
	global_load_dwordx2 v[14:15], v[10:11], off
	global_load_dwordx2 v[36:37], v[12:13], off
	v_mad_u64_u32 v[10:11], s[10:11], s4, 48, v[16:17]
	v_add_u32_e32 v11, s7, v11
	global_load_dwordx2 v[12:13], v[10:11], off
	v_mad_u64_u32 v[10:11], s[10:11], s4, 24, v[10:11]
	v_add_u32_e32 v11, s6, v11
	;; [unrolled: 3-line block ×4, first 2 shown]
	global_load_dwordx2 v[40:41], v[10:11], off
	global_load_dwordx2 v[42:43], v159, s[8:9] offset:192
	v_mad_u64_u32 v[10:11], s[10:11], s4, 24, v[10:11]
	v_add_u32_e32 v11, s6, v11
	global_load_dwordx2 v[44:45], v[10:11], off
	global_load_dwordx2 v[46:47], v159, s[8:9] offset:216
	v_mad_u64_u32 v[10:11], s[10:11], s4, 24, v[10:11]
	v_add_u32_e32 v11, s6, v11
	global_load_dwordx2 v[48:49], v159, s[8:9] offset:240
	global_load_dwordx2 v[50:51], v[10:11], off
	global_load_dwordx2 v[52:53], v159, s[8:9] offset:264
	v_mad_u64_u32 v[10:11], s[10:11], s4, 48, v[10:11]
	v_add_u32_e32 v11, s7, v11
	global_load_dwordx2 v[54:55], v[10:11], off
	v_mad_u64_u32 v[10:11], s[10:11], s4, 24, v[10:11]
	v_add_u32_e32 v11, s6, v11
	global_load_dwordx2 v[58:59], v[10:11], off
	v_mad_u64_u32 v[10:11], s[10:11], s4, 24, v[10:11]
	v_add_u32_e32 v11, s6, v11
	global_load_dwordx2 v[56:57], v159, s[8:9] offset:288
	global_load_dwordx2 v[62:63], v159, s[8:9] offset:312
	global_load_dwordx2 v[64:65], v[10:11], off
	global_load_dwordx2 v[66:67], v159, s[8:9] offset:336
	global_load_dwordx2 v[68:69], v159, s[8:9] offset:360
	v_mad_u64_u32 v[10:11], s[6:7], s4, v160, 0
	v_mov_b32_e32 v70, v11
	v_mad_u64_u32 v[70:71], s[4:5], s5, v160, v[70:71]
	v_mov_b32_e32 v11, v70
	v_lshl_add_u64 v[0:1], v[10:11], 3, v[0:1]
	global_load_dwordx2 v[10:11], v[0:1], off
	global_load_dwordx2 v[70:71], v159, s[8:9] offset:384
	s_waitcnt vmcnt(32)
	v_mul_f32_e32 v0, v3, v19
	v_mul_f32_e32 v1, v2, v19
	v_fmac_f32_e32 v0, v2, v18
	v_fma_f32 v1, v3, v18, -v1
	ds_write_b64 v60, v[0:1]
	s_waitcnt vmcnt(28)
	v_mul_f32_e32 v0, v23, v21
	v_mul_f32_e32 v1, v22, v21
	s_waitcnt vmcnt(27)
	v_mul_f32_e32 v2, v25, v9
	v_mul_f32_e32 v3, v24, v9
	v_fmac_f32_e32 v0, v22, v20
	v_fma_f32 v1, v23, v20, -v1
	v_fmac_f32_e32 v2, v24, v8
	v_fma_f32 v3, v25, v8, -v3
	s_waitcnt vmcnt(21)
	v_mul_f32_e32 v72, v35, v27
	v_mul_f32_e32 v19, v34, v27
	ds_write2_b64 v61, v[0:1], v[2:3] offset0:3 offset1:6
	v_mul_f32_e32 v0, v7, v5
	v_mul_f32_e32 v1, v6, v5
	v_fmac_f32_e32 v72, v34, v26
	v_fma_f32 v73, v35, v26, -v19
	v_fmac_f32_e32 v0, v6, v4
	v_fma_f32 v1, v7, v4, -v1
	ds_write2_b64 v61, v[0:1], v[72:73] offset0:9 offset1:12
	s_waitcnt vmcnt(18)
	v_mul_f32_e32 v0, v12, v29
	v_fma_f32 v1, v13, v28, -v0
	v_mul_f32_e32 v0, v13, v29
	s_waitcnt vmcnt(17)
	v_mul_f32_e32 v2, v17, v31
	v_mul_f32_e32 v3, v16, v31
	v_fmac_f32_e32 v0, v12, v28
	v_fmac_f32_e32 v2, v16, v30
	v_fma_f32 v3, v17, v30, -v3
	ds_write2_b64 v61, v[0:1], v[2:3] offset0:15 offset1:18
	s_waitcnt vmcnt(16)
	v_mul_f32_e32 v0, v39, v33
	v_mul_f32_e32 v1, v38, v33
	s_waitcnt vmcnt(14)
	v_mul_f32_e32 v2, v15, v43
	v_mul_f32_e32 v3, v14, v43
	v_fmac_f32_e32 v0, v38, v32
	v_fma_f32 v1, v39, v32, -v1
	v_fmac_f32_e32 v2, v14, v42
	v_fma_f32 v3, v15, v42, -v3
	ds_write2_b64 v61, v[0:1], v[2:3] offset0:21 offset1:24
	s_waitcnt vmcnt(12)
	v_mul_f32_e32 v0, v41, v47
	v_mul_f32_e32 v1, v40, v47
	s_waitcnt vmcnt(11)
	v_mul_f32_e32 v2, v45, v49
	v_mul_f32_e32 v3, v44, v49
	v_fmac_f32_e32 v0, v40, v46
	v_fma_f32 v1, v41, v46, -v1
	v_fmac_f32_e32 v2, v44, v48
	v_fma_f32 v3, v45, v48, -v3
	ds_write2_b64 v61, v[0:1], v[2:3] offset0:27 offset1:30
	s_waitcnt vmcnt(9)
	v_mul_f32_e32 v0, v51, v53
	v_mul_f32_e32 v1, v50, v53
	v_fmac_f32_e32 v0, v50, v52
	v_fma_f32 v1, v51, v52, -v1
	s_waitcnt vmcnt(6)
	v_mul_f32_e32 v2, v37, v57
	v_mul_f32_e32 v3, v36, v57
	v_fmac_f32_e32 v2, v36, v56
	v_fma_f32 v3, v37, v56, -v3
	ds_write2_b64 v61, v[0:1], v[2:3] offset0:33 offset1:36
	s_waitcnt vmcnt(5)
	v_mul_f32_e32 v0, v55, v63
	v_mul_f32_e32 v1, v54, v63
	s_waitcnt vmcnt(3)
	v_mul_f32_e32 v2, v59, v67
	v_mul_f32_e32 v3, v58, v67
	v_fmac_f32_e32 v0, v54, v62
	v_fma_f32 v1, v55, v62, -v1
	v_fmac_f32_e32 v2, v58, v66
	v_fma_f32 v3, v59, v66, -v3
	ds_write2_b64 v61, v[0:1], v[2:3] offset0:39 offset1:42
	s_waitcnt vmcnt(2)
	v_mul_f32_e32 v0, v65, v69
	v_mul_f32_e32 v1, v64, v69
	s_waitcnt vmcnt(0)
	v_mul_f32_e32 v2, v11, v71
	v_mul_f32_e32 v3, v10, v71
	v_fmac_f32_e32 v0, v64, v68
	v_fma_f32 v1, v65, v68, -v1
	v_fmac_f32_e32 v2, v10, v70
	v_fma_f32 v3, v11, v70, -v3
	ds_write2_b64 v61, v[0:1], v[2:3] offset0:45 offset1:48
.LBB0_3:
	s_or_b64 exec, exec, s[2:3]
	s_load_dwordx2 s[2:3], s[0:1], 0x20
	s_load_dwordx2 s[4:5], s[0:1], 0x8
	v_mov_b32_e32 v0, 0
	v_mov_b32_e32 v1, 0
	s_waitcnt lgkmcnt(0)
	s_barrier
	s_waitcnt lgkmcnt(0)
                                        ; implicit-def: $vgpr56
                                        ; implicit-def: $vgpr6
                                        ; implicit-def: $vgpr10
                                        ; implicit-def: $vgpr14
                                        ; implicit-def: $vgpr18
                                        ; implicit-def: $vgpr22
                                        ; implicit-def: $vgpr26
                                        ; implicit-def: $vgpr30
	s_and_saveexec_b64 s[0:1], vcc
	s_cbranch_execz .LBB0_5
; %bb.4:
	v_lshl_add_u32 v32, v231, 3, v159
	ds_read2_b64 v[0:3], v32 offset1:3
	ds_read2_b64 v[28:31], v32 offset0:6 offset1:9
	ds_read2_b64 v[24:27], v32 offset0:12 offset1:15
	;; [unrolled: 1-line block ×7, first 2 shown]
	ds_read_b64 v[56:57], v32 offset:384
.LBB0_5:
	s_or_b64 exec, exec, s[0:1]
	s_mov_b32 s16, 0x3f06c442
	s_waitcnt lgkmcnt(1)
	v_pk_add_f32 v[52:53], v[28:29], v[6:7] neg_lo:[0,1] neg_hi:[0,1]
	s_mov_b32 s0, 0xbf7ee86f
	v_pk_add_f32 v[58:59], v[16:17], v[18:19]
	v_pk_add_f32 v[72:73], v[16:17], v[18:19] neg_lo:[0,1] neg_hi:[0,1]
	s_mov_b32 s14, 0x3f3d2fb0
	s_mov_b32 s10, 0xbf2c7751
	;; [unrolled: 1-line block ×4, first 2 shown]
	s_waitcnt lgkmcnt(0)
	v_pk_add_f32 v[36:37], v[56:57], v[2:3]
	v_pk_add_f32 v[38:39], v[2:3], v[56:57] neg_lo:[0,1] neg_hi:[0,1]
	v_pk_add_f32 v[32:33], v[28:29], v[6:7]
	s_mov_b32 s1, 0x3dbcf732
	v_mov_b32_e32 v59, v72
	v_pk_add_f32 v[70:71], v[16:17], v[18:19]
	v_pk_mul_f32 v[34:35], v[52:53], s[10:11] op_sel:[1,0] op_sel_hi:[0,0]
	s_mov_b32 s20, s17
	s_mov_b32 s21, s18
	v_mov_b32_e32 v106, v36
	v_mov_b32_e32 v107, v38
	s_mov_b32 s52, s14
	s_mov_b32 s53, s10
	v_mov_b32_e32 v54, v32
	v_mov_b32_e32 v55, v52
	s_mov_b32 s6, s1
	s_mov_b32 s7, s0
	v_mov_b32_e32 v70, v73
	v_pk_fma_f32 v[66:67], v[32:33], s[14:15], v[34:35] op_sel_hi:[1,0,1]
	v_pk_fma_f32 v[68:69], v[32:33], s[14:15], v[34:35] op_sel_hi:[1,0,1] neg_lo:[0,0,1] neg_hi:[0,0,1]
	s_mov_b32 s19, s17
	v_pk_mul_f32 v[34:35], v[58:59], s[20:21]
	v_mov_b32_e32 v86, v39
	v_mov_b32_e32 v87, v37
	s_mov_b32 s11, s14
	v_pk_mul_f32 v[98:99], v[106:107], s[52:53]
	v_mov_b32_e32 v64, v53
	v_mov_b32_e32 v65, v33
	v_pk_mul_f32 v[62:63], v[54:55], s[6:7]
	v_pk_fma_f32 v[76:77], v[72:73], s[18:19], v[34:35] op_sel:[1,0,0] neg_lo:[1,0,0] neg_hi:[1,0,0]
	v_pk_fma_f32 v[32:33], v[70:71], s[18:19], v[34:35]
	v_pk_fma_f32 v[34:35], v[70:71], s[18:19], v[34:35] neg_lo:[0,0,1] neg_hi:[0,0,1]
	v_pk_fma_f32 v[96:97], v[86:87], s[10:11], v[98:99]
	v_pk_fma_f32 v[40:41], v[86:87], s[10:11], v[98:99] neg_lo:[0,0,1] neg_hi:[0,0,1]
	v_mov_b32_e32 v77, v33
	v_mov_b32_e32 v33, v35
	v_pk_fma_f32 v[74:75], v[64:65], s[0:1], v[62:63]
	v_pk_fma_f32 v[34:35], v[64:65], s[0:1], v[62:63] neg_lo:[0,0,1] neg_hi:[0,0,1]
	v_mov_b32_e32 v40, v96
	v_mov_b32_e32 v34, v74
	v_pk_add_f32 v[40:41], v[40:41], v[0:1]
	s_mov_b32 s22, 0xbf4c4adb
	v_pk_add_f32 v[136:137], v[30:31], v[4:5] neg_lo:[0,1] neg_hi:[0,1]
	s_mov_b32 s24, 0xbe3c28d5
	v_pk_add_f32 v[34:35], v[34:35], v[40:41]
	s_mov_b32 s28, 0xbf1a4643
	v_pk_add_f32 v[134:135], v[4:5], v[30:31]
	v_pk_mul_f32 v[40:41], v[136:137], s[22:23] op_sel_hi:[1,0]
	s_mov_b32 s25, 0xbf7ba420
	v_pk_add_f32 v[132:133], v[24:25], v[10:11] neg_lo:[0,1] neg_hi:[0,1]
	v_pk_add_f32 v[104:105], v[24:25], v[10:11]
	v_pk_fma_f32 v[78:79], v[134:135], s[28:29], v[40:41] op_sel:[0,0,1] op_sel_hi:[1,0,0]
	v_pk_fma_f32 v[80:81], v[134:135], s[28:29], v[40:41] op_sel:[0,0,1] op_sel_hi:[1,0,0] neg_lo:[0,0,1] neg_hi:[0,0,1]
	s_mov_b32 s26, s25
	s_mov_b32 s27, s24
	v_mov_b32_e32 v118, v104
	v_mov_b32_e32 v119, v132
	;; [unrolled: 1-line block ×5, first 2 shown]
	v_pk_mul_f32 v[84:85], v[118:119], s[26:27]
	v_pk_add_f32 v[138:139], v[26:27], v[8:9] neg_lo:[0,1] neg_hi:[0,1]
	v_pk_add_f32 v[108:109], v[26:27], v[8:9]
	v_pk_add_f32 v[34:35], v[40:41], v[34:35]
	v_pk_fma_f32 v[82:83], v[104:105], s[24:25], v[84:85]
	v_pk_fma_f32 v[40:41], v[104:105], s[24:25], v[84:85] neg_lo:[0,0,1] neg_hi:[0,0,1]
	v_mov_b32_e32 v120, v108
	v_mov_b32_e32 v121, v138
	s_mov_b32 s54, s17
	s_mov_b32 s55, s16
	;; [unrolled: 1-line block ×3, first 2 shown]
	v_mov_b32_e32 v40, v82
	v_mov_b32_e32 v108, v139
	v_pk_mul_f32 v[90:91], v[120:121], s[54:55]
	v_pk_add_f32 v[144:145], v[20:21], v[14:15] neg_lo:[0,1] neg_hi:[0,1]
	v_pk_add_f32 v[110:111], v[20:21], v[14:15]
	s_mov_b32 s31, 0xbe8c1d8e
	v_pk_add_f32 v[34:35], v[40:41], v[34:35]
	v_pk_fma_f32 v[88:89], v[108:109], s[16:17], v[90:91]
	v_pk_fma_f32 v[40:41], v[108:109], s[16:17], v[90:91] neg_lo:[0,0,1] neg_hi:[0,0,1]
	v_mov_b32_e32 v126, v110
	v_mov_b32_e32 v127, v144
	s_mov_b32 s36, s31
	s_mov_b32 s37, s30
	v_mov_b32_e32 v40, v88
	v_mov_b32_e32 v110, v145
	v_pk_mul_f32 v[94:95], v[126:127], s[36:37]
	v_pk_add_f32 v[166:167], v[22:23], v[12:13] neg_lo:[0,1] neg_hi:[0,1]
	v_pk_add_f32 v[116:117], v[22:23], v[12:13]
	s_mov_b32 s64, 0x3ee437d1
	s_mov_b32 s34, 0x3f65296c
	v_pk_add_f32 v[34:35], v[40:41], v[34:35]
	v_pk_fma_f32 v[92:93], v[110:111], s[30:31], v[94:95]
	v_pk_fma_f32 v[40:41], v[110:111], s[30:31], v[94:95] neg_lo:[0,0,1] neg_hi:[0,0,1]
	v_mov_b32_e32 v128, v116
	v_mov_b32_e32 v129, v166
	s_mov_b32 s42, s64
	s_mov_b32 s43, s34
	v_mov_b32_e32 v40, v92
	v_mov_b32_e32 v116, v167
	s_mov_b32 s35, s64
	v_pk_mul_f32 v[102:103], v[128:129], s[42:43]
	v_pk_add_f32 v[34:35], v[40:41], v[34:35]
	v_pk_fma_f32 v[100:101], v[116:117], s[34:35], v[102:103]
	v_pk_fma_f32 v[40:41], v[116:117], s[34:35], v[102:103] neg_lo:[0,0,1] neg_hi:[0,0,1]
	s_mov_b32 s29, s22
	v_mov_b32_e32 v40, v100
	v_pk_add_f32 v[34:35], v[40:41], v[34:35]
	s_mov_b32 s23, s28
	v_pk_mul_f32 v[40:41], v[54:55], s[28:29]
	s_mov_b32 s62, 0xbf65296c
	v_pk_fma_f32 v[130:131], v[52:53], s[22:23], v[40:41] op_sel:[1,0,0] neg_lo:[1,0,0] neg_hi:[1,0,0]
	v_pk_fma_f32 v[42:43], v[64:65], s[22:23], v[40:41]
	v_pk_fma_f32 v[40:41], v[64:65], s[22:23], v[40:41] neg_lo:[0,0,1] neg_hi:[0,0,1]
	v_mov_b32_e32 v131, v43
	v_mov_b32_e32 v43, v41
	v_pk_mul_f32 v[40:41], v[136:137], s[62:63] op_sel_hi:[1,0]
	s_mov_b32 s63, s64
	v_pk_fma_f32 v[112:113], v[134:135], s[64:65], v[40:41] op_sel:[0,0,1] op_sel_hi:[1,0,0]
	v_pk_fma_f32 v[114:115], v[134:135], s[64:65], v[40:41] op_sel:[0,0,1] op_sel_hi:[1,0,0] neg_lo:[0,0,1] neg_hi:[0,0,1]
	s_mov_b32 s65, s62
	v_pk_mul_f32 v[40:41], v[38:39], s[62:63] op_sel_hi:[1,0]
	s_mov_b32 s40, 0x3e3c28d5
	v_pk_fma_f32 v[140:141], v[36:37], s[64:65], v[40:41] op_sel:[0,0,1] op_sel_hi:[1,0,0] neg_lo:[0,0,1] neg_hi:[0,0,1]
	v_pk_fma_f32 v[40:41], v[36:37], s[64:65], v[40:41] op_sel:[0,0,1] op_sel_hi:[1,0,0]
	s_mov_b32 s38, s25
	v_mov_b32_e32 v143, v41
	v_mov_b32_e32 v41, v141
	v_pk_add_f32 v[40:41], v[40:41], v[0:1]
	v_pk_mul_f32 v[150:151], v[104:105], s[30:31]
	v_pk_add_f32 v[40:41], v[42:43], v[40:41]
	v_pk_mul_f32 v[42:43], v[136:137], s[40:41] op_sel_hi:[1,0]
	v_pk_fma_f32 v[152:153], v[118:119], s[36:37], v[150:151]
	v_pk_fma_f32 v[148:149], v[134:135], s[38:39], v[42:43] op_sel:[0,0,1] op_sel_hi:[1,0,0] neg_lo:[0,0,1] neg_hi:[0,0,1]
	v_pk_fma_f32 v[42:43], v[134:135], s[38:39], v[42:43] op_sel:[0,0,1] op_sel_hi:[1,0,0]
	s_mov_b32 s48, 0x3f2c7751
	v_mov_b32_e32 v147, v43
	v_mov_b32_e32 v43, v149
	v_pk_add_f32 v[40:41], v[42:43], v[40:41]
	v_pk_fma_f32 v[42:43], v[118:119], s[36:37], v[150:151] neg_lo:[1,0,0] neg_hi:[1,0,0]
	s_mov_b32 s49, s14
	v_mov_b32_e32 v42, v152
	s_mov_b32 s15, s48
	v_pk_mul_f32 v[154:155], v[108:109], s[48:49]
	s_mov_b32 s38, 0xbeb8f4ab
	v_pk_add_f32 v[40:41], v[42:43], v[40:41]
	v_pk_fma_f32 v[124:125], v[120:121], s[14:15], v[154:155]
	v_pk_fma_f32 v[42:43], v[120:121], s[14:15], v[154:155] neg_lo:[1,0,0] neg_hi:[1,0,0]
	s_mov_b32 s39, 0x3f6eb680
	v_mov_b32_e32 v42, v124
	s_mov_b32 s44, s39
	s_mov_b32 s45, s38
	v_pk_mul_f32 v[60:61], v[110:111], s[38:39]
	v_pk_add_f32 v[40:41], v[42:43], v[40:41]
	v_pk_fma_f32 v[156:157], v[126:127], s[44:45], v[60:61]
	v_pk_fma_f32 v[42:43], v[126:127], s[44:45], v[60:61] neg_lo:[1,0,0] neg_hi:[1,0,0]
	v_pk_mul_f32 v[162:163], v[116:117], s[0:1]
	v_mov_b32_e32 v42, v156
	s_mov_b32 s40, 0x3eb8f4ab
	v_pk_add_f32 v[40:41], v[42:43], v[40:41]
	v_pk_fma_f32 v[164:165], v[128:129], s[6:7], v[162:163]
	v_pk_fma_f32 v[42:43], v[128:129], s[6:7], v[162:163] neg_lo:[1,0,0] neg_hi:[1,0,0]
	s_mov_b32 s50, s39
	s_mov_b32 s51, s40
	v_mov_b32_e32 v42, v164
	s_mov_b32 s41, s39
	v_pk_mul_f32 v[228:229], v[58:59], s[50:51]
	v_pk_add_f32 v[40:41], v[42:43], v[40:41]
	v_pk_fma_f32 v[122:123], v[70:71], s[40:41], v[228:229]
	v_pk_fma_f32 v[42:43], v[70:71], s[40:41], v[228:229] neg_lo:[0,0,1] neg_hi:[0,0,1]
	v_pk_add_f32 v[32:33], v[32:33], v[40:41]
	v_mov_b32_e32 v42, v122
	s_mov_b32 s46, 0xbf763a35
	s_mov_b32 s47, s31
	;; [unrolled: 1-line block ×3, first 2 shown]
	v_pk_mul_f32 v[40:41], v[38:39], s[0:1] op_sel_hi:[1,0]
	v_pk_add_f32 v[34:35], v[42:43], v[34:35]
	s_mov_b32 s56, s31
	v_pk_fma_f32 v[42:43], v[36:37], s[58:59], v[40:41] op_sel:[0,0,1] op_sel_hi:[1,0,0] neg_lo:[0,0,1] neg_hi:[0,0,1]
	v_pk_fma_f32 v[40:41], v[36:37], s[58:59], v[40:41] op_sel:[0,0,1] op_sel_hi:[1,0,0]
	v_pk_mul_f32 v[38:39], v[38:39], s[46:47] op_sel_hi:[1,0]
	v_pk_mul_f32 v[48:49], v[54:55], s[26:27]
	v_pk_fma_f32 v[44:45], v[36:37], s[56:57], v[38:39] op_sel:[0,0,1] op_sel_hi:[1,0,0] neg_lo:[0,0,1] neg_hi:[0,0,1]
	v_pk_fma_f32 v[46:47], v[36:37], s[56:57], v[38:39] op_sel:[0,0,1] op_sel_hi:[1,0,0]
	v_pk_fma_f32 v[36:37], v[52:53], s[24:25], v[48:49] op_sel:[1,0,0] neg_lo:[1,0,0] neg_hi:[1,0,0]
	v_pk_fma_f32 v[50:51], v[64:65], s[24:25], v[48:49]
	v_mov_b32_e32 v38, v42
	v_mov_b32_e32 v39, v41
	;; [unrolled: 1-line block ×3, first 2 shown]
	v_pk_add_f32 v[38:39], v[38:39], v[0:1]
	v_pk_mul_f32 v[168:169], v[54:55], s[54:55]
	v_pk_add_f32 v[36:37], v[36:37], v[38:39]
	v_pk_fma_f32 v[38:39], v[52:53], s[16:17], v[168:169] op_sel:[1,0,0] neg_lo:[1,0,0] neg_hi:[1,0,0]
	v_pk_fma_f32 v[170:171], v[64:65], s[16:17], v[168:169]
	v_mov_b32_e32 v173, v45
	v_mov_b32_e32 v45, v47
	;; [unrolled: 1-line block ×3, first 2 shown]
	v_pk_add_f32 v[44:45], v[44:45], v[0:1]
	s_mov_b32 s54, 0x3f7ee86f
	v_pk_add_f32 v[38:39], v[38:39], v[44:45]
	v_pk_mul_f32 v[44:45], v[136:137], s[30:31] op_sel_hi:[1,0]
	s_mov_b32 s55, s1
	v_pk_fma_f32 v[176:177], v[134:135], s[56:57], v[44:45] op_sel:[0,0,1] op_sel_hi:[1,0,0] neg_lo:[0,0,1] neg_hi:[0,0,1]
	v_pk_fma_f32 v[44:45], v[134:135], s[56:57], v[44:45] op_sel:[0,0,1] op_sel_hi:[1,0,0]
	v_mov_b32_e32 v178, v176
	v_mov_b32_e32 v179, v45
	v_pk_add_f32 v[36:37], v[178:179], v[36:37]
	v_pk_mul_f32 v[178:179], v[136:137], s[48:49] op_sel_hi:[1,0]
	s_mov_b32 s56, s1
	v_pk_fma_f32 v[180:181], v[134:135], s[14:15], v[178:179] op_sel:[0,0,1] op_sel_hi:[1,0,0] neg_lo:[0,0,1] neg_hi:[0,0,1]
	v_pk_fma_f32 v[178:179], v[134:135], s[14:15], v[178:179] op_sel:[0,0,1] op_sel_hi:[1,0,0]
	v_mov_b32_e32 v182, v180
	v_mov_b32_e32 v183, v179
	v_pk_add_f32 v[38:39], v[182:183], v[38:39]
	v_pk_mul_f32 v[182:183], v[118:119], s[50:51]
	s_mov_b32 s57, s54
	v_pk_fma_f32 v[184:185], v[132:133], s[40:41], v[182:183] op_sel:[1,0,0] neg_lo:[1,0,0] neg_hi:[1,0,0]
	v_pk_fma_f32 v[186:187], v[104:105], s[40:41], v[182:183]
	s_mov_b32 s60, 0x3f4c4adb
	v_mov_b32_e32 v185, v187
	v_pk_add_f32 v[36:37], v[184:185], v[36:37]
	v_pk_mul_f32 v[184:185], v[118:119], s[64:65]
	s_mov_b32 s61, s28
	v_pk_fma_f32 v[188:189], v[132:133], s[62:63], v[184:185] op_sel:[1,0,0] neg_lo:[1,0,0] neg_hi:[1,0,0]
	v_pk_fma_f32 v[190:191], v[104:105], s[62:63], v[184:185]
	s_mov_b32 s66, s28
	v_mov_b32_e32 v189, v191
	v_pk_add_f32 v[38:39], v[188:189], v[38:39]
	v_pk_mul_f32 v[188:189], v[108:109], s[62:63]
	s_mov_b32 s67, s60
	v_pk_fma_f32 v[192:193], v[120:121], s[64:65], v[188:189]
	v_pk_fma_f32 v[194:195], v[120:121], s[64:65], v[188:189] neg_lo:[0,0,1] neg_hi:[0,0,1]
	v_mov_b32_e32 v172, v46
	v_mov_b32_e32 v195, v193
	v_pk_add_f32 v[36:37], v[194:195], v[36:37]
	v_pk_mul_f32 v[194:195], v[120:121], s[26:27]
	v_pk_fma_f32 v[46:47], v[64:65], s[24:25], v[48:49] neg_lo:[0,0,1] neg_hi:[0,0,1]
	v_pk_fma_f32 v[196:197], v[138:139], s[24:25], v[194:195] op_sel:[1,0,0] neg_lo:[1,0,0] neg_hi:[1,0,0]
	v_pk_fma_f32 v[198:199], v[108:109], s[24:25], v[194:195]
	v_mov_b32_e32 v41, v43
	v_mov_b32_e32 v197, v199
	v_pk_add_f32 v[38:39], v[196:197], v[38:39]
	v_pk_mul_f32 v[196:197], v[110:111], s[18:19]
	v_mov_b32_e32 v51, v47
	v_pk_fma_f32 v[200:201], v[126:127], s[20:21], v[196:197]
	v_pk_fma_f32 v[202:203], v[126:127], s[20:21], v[196:197] neg_lo:[0,0,1] neg_hi:[0,0,1]
	v_pk_add_f32 v[40:41], v[40:41], v[0:1]
	v_mov_b32_e32 v203, v201
	v_pk_add_f32 v[36:37], v[202:203], v[36:37]
	v_pk_mul_f32 v[202:203], v[110:111], s[54:55]
	v_mov_b32_e32 v45, v177
	v_pk_fma_f32 v[204:205], v[126:127], s[56:57], v[202:203]
	v_pk_fma_f32 v[206:207], v[126:127], s[56:57], v[202:203] neg_lo:[0,0,1] neg_hi:[0,0,1]
	v_pk_add_f32 v[40:41], v[50:51], v[40:41]
	v_mov_b32_e32 v207, v205
	v_pk_add_f32 v[38:39], v[206:207], v[38:39]
	v_pk_mul_f32 v[206:207], v[116:117], s[60:61]
	v_pk_fma_f32 v[42:43], v[64:65], s[16:17], v[168:169] neg_lo:[0,0,1] neg_hi:[0,0,1]
	v_pk_fma_f32 v[208:209], v[128:129], s[66:67], v[206:207]
	v_pk_fma_f32 v[210:211], v[128:129], s[66:67], v[206:207] neg_lo:[0,0,1] neg_hi:[0,0,1]
	v_mov_b32_e32 v171, v43
	v_mov_b32_e32 v211, v209
	v_pk_add_f32 v[36:37], v[210:211], v[36:37]
	v_pk_mul_f32 v[210:211], v[116:117], s[38:39]
	v_pk_add_f32 v[42:43], v[172:173], v[0:1]
	v_pk_fma_f32 v[212:213], v[128:129], s[44:45], v[210:211]
	v_pk_fma_f32 v[214:215], v[128:129], s[44:45], v[210:211] neg_lo:[0,0,1] neg_hi:[0,0,1]
	v_pk_add_f32 v[40:41], v[44:45], v[40:41]
	v_pk_fma_f32 v[44:45], v[104:105], s[40:41], v[182:183] neg_lo:[0,0,1] neg_hi:[0,0,1]
	v_mov_b32_e32 v215, v213
	v_mov_b32_e32 v179, v181
	v_pk_add_f32 v[42:43], v[170:171], v[42:43]
	v_mov_b32_e32 v187, v45
	v_pk_fma_f32 v[44:45], v[104:105], s[62:63], v[184:185] neg_lo:[0,0,1] neg_hi:[0,0,1]
	v_pk_add_f32 v[38:39], v[214:215], v[38:39]
	v_pk_mul_f32 v[214:215], v[70:71], s[48:49]
	v_pk_fma_f32 v[188:189], v[120:121], s[64:65], v[188:189] neg_lo:[1,0,0] neg_hi:[1,0,0]
	v_pk_add_f32 v[42:43], v[178:179], v[42:43]
	v_mov_b32_e32 v191, v45
	v_pk_fma_f32 v[44:45], v[108:109], s[24:25], v[194:195] neg_lo:[0,0,1] neg_hi:[0,0,1]
	v_pk_fma_f32 v[216:217], v[58:59], s[14:15], v[214:215]
	v_pk_fma_f32 v[218:219], v[58:59], s[14:15], v[214:215] neg_lo:[0,0,1] neg_hi:[0,0,1]
	v_mov_b32_e32 v188, v192
	v_pk_fma_f32 v[192:193], v[126:127], s[20:21], v[196:197] neg_lo:[1,0,0] neg_hi:[1,0,0]
	v_pk_fma_f32 v[196:197], v[126:127], s[56:57], v[202:203] neg_lo:[1,0,0] neg_hi:[1,0,0]
	v_pk_add_f32 v[42:43], v[190:191], v[42:43]
	v_mov_b32_e32 v199, v45
	v_mov_b32_e32 v219, v217
	;; [unrolled: 1-line block ×3, first 2 shown]
	v_pk_fma_f32 v[202:203], v[128:129], s[44:45], v[210:211] neg_lo:[1,0,0] neg_hi:[1,0,0]
	v_pk_add_f32 v[40:41], v[186:187], v[40:41]
	v_pk_add_f32 v[42:43], v[198:199], v[42:43]
	;; [unrolled: 1-line block ×3, first 2 shown]
	v_pk_mul_f32 v[218:219], v[58:59], s[28:29]
	v_mov_b32_e32 v192, v200
	v_pk_fma_f32 v[200:201], v[128:129], s[66:67], v[206:207] neg_lo:[1,0,0] neg_hi:[1,0,0]
	v_mov_b32_e32 v202, v212
	v_pk_add_f32 v[40:41], v[188:189], v[40:41]
	v_pk_add_f32 v[42:43], v[196:197], v[42:43]
	v_pk_fma_f32 v[220:221], v[72:73], s[22:23], v[218:219] op_sel:[1,0,0] neg_lo:[1,0,0] neg_hi:[1,0,0]
	v_pk_fma_f32 v[222:223], v[70:71], s[22:23], v[218:219]
	v_mov_b32_e32 v200, v208
	v_pk_fma_f32 v[204:205], v[58:59], s[14:15], v[214:215] neg_lo:[1,0,0] neg_hi:[1,0,0]
	v_pk_add_f32 v[40:41], v[192:193], v[40:41]
	v_pk_add_f32 v[44:45], v[202:203], v[42:43]
	v_pk_fma_f32 v[42:43], v[70:71], s[22:23], v[218:219] neg_lo:[0,0,1] neg_hi:[0,0,1]
	v_mov_b32_e32 v221, v223
	v_mov_b32_e32 v204, v216
	v_pk_add_f32 v[40:41], v[200:201], v[40:41]
	v_mov_b32_e32 v223, v43
	v_pk_mul_f32 v[48:49], v[106:107], s[28:29]
	v_pk_add_f32 v[42:43], v[204:205], v[40:41]
	v_pk_add_f32 v[40:41], v[222:223], v[44:45]
	v_pk_fma_f32 v[44:45], v[86:87], s[22:23], v[48:49] neg_lo:[1,0,0] neg_hi:[1,0,0]
	v_pk_fma_f32 v[50:51], v[86:87], s[22:23], v[48:49]
	v_pk_mul_f32 v[168:169], v[54:55], s[36:37]
	v_mov_b32_e32 v45, v51
	v_pk_fma_f32 v[46:47], v[52:53], s[30:31], v[168:169] op_sel:[1,0,0] neg_lo:[1,0,0] neg_hi:[1,0,0]
	v_pk_fma_f32 v[170:171], v[64:65], s[30:31], v[168:169]
	v_pk_add_f32 v[44:45], v[44:45], v[0:1]
	v_mov_b32_e32 v47, v171
	v_pk_add_f32 v[44:45], v[46:47], v[44:45]
	s_mov_b32 s62, s39
	v_pk_mul_f32 v[46:47], v[136:137], s[38:39] op_sel_hi:[1,0]
	v_pk_mul_f32 v[178:179], v[118:119], s[20:21]
	v_pk_fma_f32 v[172:173], v[134:135], s[62:63], v[46:47] op_sel:[0,0,1] op_sel_hi:[1,0,0] neg_lo:[0,0,1] neg_hi:[0,0,1]
	v_pk_fma_f32 v[176:177], v[134:135], s[62:63], v[46:47] op_sel:[0,0,1] op_sel_hi:[1,0,0]
	v_mov_b32_e32 v46, v172
	v_mov_b32_e32 v47, v177
	v_pk_add_f32 v[44:45], v[46:47], v[44:45]
	v_pk_fma_f32 v[46:47], v[132:133], s[18:19], v[178:179] op_sel:[1,0,0] neg_lo:[1,0,0] neg_hi:[1,0,0]
	v_pk_fma_f32 v[180:181], v[104:105], s[18:19], v[178:179]
	v_pk_mul_f32 v[182:183], v[120:121], s[56:57]
	v_mov_b32_e32 v47, v181
	v_pk_add_f32 v[44:45], v[46:47], v[44:45]
	v_pk_fma_f32 v[46:47], v[138:139], s[54:55], v[182:183] op_sel:[1,0,0] neg_lo:[1,0,0] neg_hi:[1,0,0]
	v_pk_fma_f32 v[184:185], v[108:109], s[54:55], v[182:183]
	v_pk_mul_f32 v[186:187], v[126:127], s[52:53]
	;; [unrolled: 5-line block ×3, first 2 shown]
	v_mov_b32_e32 v47, v189
	v_pk_add_f32 v[44:45], v[46:47], v[44:45]
	v_pk_fma_f32 v[192:193], v[128:129], s[26:27], v[190:191]
	v_pk_fma_f32 v[46:47], v[128:129], s[26:27], v[190:191] neg_lo:[0,0,1] neg_hi:[0,0,1]
	v_pk_mul_f32 v[194:195], v[106:107], s[20:21]
	v_mov_b32_e32 v47, v193
	v_pk_add_f32 v[44:45], v[46:47], v[44:45]
	v_pk_fma_f32 v[46:47], v[86:87], s[18:19], v[194:195] neg_lo:[1,0,0] neg_hi:[1,0,0]
	v_pk_fma_f32 v[196:197], v[86:87], s[18:19], v[194:195]
	v_pk_mul_f32 v[198:199], v[54:55], s[42:43]
	v_mov_b32_e32 v47, v197
	v_pk_fma_f32 v[200:201], v[52:53], s[34:35], v[198:199] op_sel:[1,0,0] neg_lo:[1,0,0] neg_hi:[1,0,0]
	v_pk_fma_f32 v[202:203], v[64:65], s[34:35], v[198:199]
	v_pk_add_f32 v[46:47], v[46:47], v[0:1]
	v_mov_b32_e32 v201, v203
	v_pk_add_f32 v[46:47], v[200:201], v[46:47]
	v_pk_mul_f32 v[200:201], v[136:137], s[0:1] op_sel_hi:[1,0]
	v_pk_fma_f32 v[48:49], v[86:87], s[22:23], v[48:49] neg_lo:[0,0,1] neg_hi:[0,0,1]
	v_pk_fma_f32 v[204:205], v[134:135], s[58:59], v[200:201] op_sel:[0,0,1] op_sel_hi:[1,0,0] neg_lo:[0,0,1] neg_hi:[0,0,1]
	v_pk_fma_f32 v[200:201], v[134:135], s[58:59], v[200:201] op_sel:[0,0,1] op_sel_hi:[1,0,0]
	v_mov_b32_e32 v206, v204
	v_mov_b32_e32 v207, v201
	v_pk_add_f32 v[46:47], v[206:207], v[46:47]
	v_pk_mul_f32 v[206:207], v[118:119], s[66:67]
	v_mov_b32_e32 v51, v49
	v_pk_fma_f32 v[208:209], v[132:133], s[60:61], v[206:207] op_sel:[1,0,0] neg_lo:[1,0,0] neg_hi:[1,0,0]
	v_pk_fma_f32 v[210:211], v[104:105], s[60:61], v[206:207]
	v_pk_fma_f32 v[48:49], v[64:65], s[30:31], v[168:169] neg_lo:[0,0,1] neg_hi:[0,0,1]
	v_mov_b32_e32 v209, v211
	v_pk_add_f32 v[46:47], v[208:209], v[46:47]
	v_pk_mul_f32 v[208:209], v[120:121], s[44:45]
	v_pk_add_f32 v[38:39], v[220:221], v[38:39]
	v_pk_fma_f32 v[212:213], v[138:139], s[38:39], v[208:209] op_sel:[1,0,0] neg_lo:[1,0,0] neg_hi:[1,0,0]
	v_pk_fma_f32 v[214:215], v[108:109], s[38:39], v[208:209]
	v_mov_b32_e32 v171, v49
	v_mov_b32_e32 v213, v215
	v_pk_add_f32 v[46:47], v[212:213], v[46:47]
	v_pk_mul_f32 v[212:213], v[126:127], s[26:27]
	v_pk_fma_f32 v[48:49], v[104:105], s[18:19], v[178:179] neg_lo:[0,0,1] neg_hi:[0,0,1]
	v_pk_fma_f32 v[216:217], v[144:145], s[24:25], v[212:213] op_sel:[1,0,0] neg_lo:[1,0,0] neg_hi:[1,0,0]
	v_pk_fma_f32 v[218:219], v[110:111], s[24:25], v[212:213]
	v_mov_b32_e32 v181, v49
	v_mov_b32_e32 v217, v219
	v_pk_add_f32 v[46:47], v[216:217], v[46:47]
	v_pk_mul_f32 v[216:217], v[128:129], s[14:15]
	v_pk_add_f32 v[48:49], v[50:51], v[0:1]
	v_pk_fma_f32 v[220:221], v[166:167], s[48:49], v[216:217] op_sel:[1,0,0] neg_lo:[1,0,0] neg_hi:[1,0,0]
	v_pk_fma_f32 v[222:223], v[116:117], s[48:49], v[216:217]
	v_pk_fma_f32 v[50:51], v[108:109], s[54:55], v[182:183] neg_lo:[0,0,1] neg_hi:[0,0,1]
	v_mov_b32_e32 v221, v223
	v_pk_add_f32 v[46:47], v[220:221], v[46:47]
	v_pk_mul_f32 v[220:221], v[58:59], s[42:43]
	v_mov_b32_e32 v185, v51
	v_pk_fma_f32 v[50:51], v[110:111], s[10:11], v[186:187] neg_lo:[0,0,1] neg_hi:[0,0,1]
	v_pk_fma_f32 v[224:225], v[72:73], s[34:35], v[220:221] op_sel:[1,0,0] neg_lo:[1,0,0] neg_hi:[1,0,0]
	v_pk_fma_f32 v[226:227], v[70:71], s[34:35], v[220:221]
	v_mov_b32_e32 v189, v51
	v_pk_fma_f32 v[50:51], v[70:71], s[34:35], v[220:221] neg_lo:[0,0,1] neg_hi:[0,0,1]
	v_mov_b32_e32 v225, v227
	v_mov_b32_e32 v227, v51
	v_pk_fma_f32 v[50:51], v[86:87], s[18:19], v[194:195] neg_lo:[0,0,1] neg_hi:[0,0,1]
	v_mov_b32_e32 v201, v205
	;; [unrolled: 3-line block ×3, first 2 shown]
	v_mov_b32_e32 v203, v51
	v_pk_fma_f32 v[50:51], v[104:105], s[60:61], v[206:207] neg_lo:[0,0,1] neg_hi:[0,0,1]
	v_pk_add_f32 v[48:49], v[170:171], v[48:49]
	v_mov_b32_e32 v211, v51
	v_pk_fma_f32 v[50:51], v[108:109], s[38:39], v[208:209] neg_lo:[0,0,1] neg_hi:[0,0,1]
	v_pk_add_f32 v[48:49], v[176:177], v[48:49]
	v_mov_b32_e32 v215, v51
	v_pk_add_f32 v[50:51], v[196:197], v[0:1]
	v_pk_fma_f32 v[168:169], v[110:111], s[24:25], v[212:213] neg_lo:[0,0,1] neg_hi:[0,0,1]
	v_pk_add_f32 v[50:51], v[202:203], v[50:51]
	s_mov_b32 s52, s31
	v_pk_add_f32 v[50:51], v[200:201], v[50:51]
	s_mov_b32 s53, s46
	v_pk_add_f32 v[50:51], v[210:211], v[50:51]
	v_pk_add_f32 v[48:49], v[180:181], v[48:49]
	;; [unrolled: 1-line block ×3, first 2 shown]
	v_mov_b32_e32 v219, v169
	v_pk_fma_f32 v[168:169], v[116:117], s[48:49], v[216:217] neg_lo:[0,0,1] neg_hi:[0,0,1]
	v_pk_add_f32 v[44:45], v[224:225], v[44:45]
	v_pk_mul_f32 v[224:225], v[58:59], s[52:53]
	v_pk_fma_f32 v[190:191], v[128:129], s[26:27], v[190:191] neg_lo:[1,0,0] neg_hi:[1,0,0]
	v_pk_add_f32 v[48:49], v[184:185], v[48:49]
	v_pk_add_f32 v[50:51], v[218:219], v[50:51]
	v_mov_b32_e32 v223, v169
	v_pk_fma_f32 v[234:235], v[72:73], s[46:47], v[224:225] op_sel:[1,0,0] neg_lo:[1,0,0] neg_hi:[1,0,0]
	v_pk_fma_f32 v[236:237], v[70:71], s[46:47], v[224:225]
	v_mov_b32_e32 v190, v192
	v_pk_add_f32 v[48:49], v[188:189], v[48:49]
	v_pk_add_f32 v[168:169], v[222:223], v[50:51]
	v_pk_fma_f32 v[50:51], v[70:71], s[46:47], v[224:225] neg_lo:[0,0,1] neg_hi:[0,0,1]
	v_mov_b32_e32 v235, v237
	v_pk_add_f32 v[48:49], v[190:191], v[48:49]
	v_mov_b32_e32 v237, v51
	s_mov_b32 s58, s17
	v_pk_mul_f32 v[136:137], v[136:137], s[18:19] op_sel_hi:[1,0]
	v_pk_add_f32 v[50:51], v[226:227], v[48:49]
	v_pk_add_f32 v[48:49], v[236:237], v[168:169]
	v_pk_fma_f32 v[168:169], v[134:135], s[58:59], v[136:137] op_sel:[0,0,1] op_sel_hi:[1,0,0] neg_lo:[0,0,1] neg_hi:[0,0,1]
	v_pk_fma_f32 v[134:135], v[134:135], s[58:59], v[136:137] op_sel:[0,0,1] op_sel_hi:[1,0,0]
	v_pk_mul_f32 v[136:137], v[128:129], s[52:53]
	v_pk_mul_f32 v[172:173], v[106:107], s[26:27]
	v_pk_fma_f32 v[166:167], v[166:167], s[46:47], v[136:137] op_sel:[1,0,0] neg_lo:[1,0,0] neg_hi:[1,0,0]
	v_pk_fma_f32 v[170:171], v[116:117], s[46:47], v[136:137]
	v_pk_fma_f32 v[136:137], v[116:117], s[46:47], v[136:137] neg_lo:[0,0,1] neg_hi:[0,0,1]
	v_pk_mul_f32 v[54:55], v[54:55], s[50:51]
	v_pk_fma_f32 v[176:177], v[86:87], s[24:25], v[172:173] neg_lo:[1,0,0] neg_hi:[1,0,0]
	v_pk_fma_f32 v[178:179], v[86:87], s[24:25], v[172:173]
	v_mov_b32_e32 v167, v171
	v_mov_b32_e32 v171, v137
	v_pk_fma_f32 v[52:53], v[52:53], s[40:41], v[54:55] op_sel:[1,0,0] neg_lo:[1,0,0] neg_hi:[1,0,0]
	v_pk_fma_f32 v[136:137], v[64:65], s[40:41], v[54:55]
	v_mov_b32_e32 v177, v179
	v_mov_b32_e32 v53, v137
	v_pk_add_f32 v[176:177], v[176:177], v[0:1]
	v_pk_fma_f32 v[54:55], v[64:65], s[40:41], v[54:55] neg_lo:[0,0,1] neg_hi:[0,0,1]
	v_pk_add_f32 v[52:53], v[52:53], v[176:177]
	v_mov_b32_e32 v176, v168
	v_mov_b32_e32 v177, v135
	v_pk_add_f32 v[52:53], v[176:177], v[52:53]
	v_pk_mul_f32 v[176:177], v[118:119], s[14:15]
	v_mov_b32_e32 v137, v55
	v_pk_fma_f32 v[132:133], v[132:133], s[48:49], v[176:177] op_sel:[1,0,0] neg_lo:[1,0,0] neg_hi:[1,0,0]
	v_pk_fma_f32 v[180:181], v[104:105], s[48:49], v[176:177]
	v_pk_fma_f32 v[54:55], v[104:105], s[48:49], v[176:177] neg_lo:[0,0,1] neg_hi:[0,0,1]
	v_mov_b32_e32 v133, v181
	v_pk_add_f32 v[52:53], v[132:133], v[52:53]
	v_pk_mul_f32 v[132:133], v[120:121], s[28:29]
	v_mov_b32_e32 v181, v55
	v_pk_fma_f32 v[138:139], v[138:139], s[22:23], v[132:133] op_sel:[1,0,0] neg_lo:[1,0,0] neg_hi:[1,0,0]
	v_pk_fma_f32 v[182:183], v[108:109], s[22:23], v[132:133]
	v_pk_fma_f32 v[54:55], v[108:109], s[22:23], v[132:133] neg_lo:[0,0,1] neg_hi:[0,0,1]
	;; [unrolled: 7-line block ×3, first 2 shown]
	v_mov_b32_e32 v145, v185
	v_mov_b32_e32 v185, v55
	v_pk_fma_f32 v[54:55], v[86:87], s[24:25], v[172:173] neg_lo:[0,0,1] neg_hi:[0,0,1]
	v_mov_b32_e32 v135, v169
	v_mov_b32_e32 v179, v55
	v_pk_add_f32 v[54:55], v[178:179], v[0:1]
	v_pk_mul_f32 v[132:133], v[58:59], s[56:57]
	v_pk_add_f32 v[54:55], v[136:137], v[54:55]
	v_pk_mul_f32 v[172:173], v[106:107], s[44:45]
	v_pk_add_f32 v[54:55], v[134:135], v[54:55]
	v_pk_add_f32 v[52:53], v[144:145], v[52:53]
	;; [unrolled: 1-line block ×3, first 2 shown]
	v_pk_fma_f32 v[72:73], v[72:73], s[54:55], v[132:133] op_sel:[1,0,0] neg_lo:[1,0,0] neg_hi:[1,0,0]
	v_pk_add_f32 v[54:55], v[182:183], v[54:55]
	v_pk_fma_f32 v[134:135], v[70:71], s[54:55], v[132:133]
	v_pk_add_f32 v[54:55], v[184:185], v[54:55]
	v_pk_fma_f32 v[106:107], v[86:87], s[38:39], v[172:173] neg_lo:[0,0,1] neg_hi:[0,0,1]
	v_pk_add_f32 v[54:55], v[170:171], v[54:55]
	v_pk_fma_f32 v[170:171], v[86:87], s[38:39], v[172:173]
	v_pk_add_f32 v[52:53], v[166:167], v[52:53]
	v_mov_b32_e32 v73, v135
	v_mov_b32_e32 v106, v170
	v_pk_fma_f32 v[132:133], v[70:71], s[54:55], v[132:133] neg_lo:[0,0,1] neg_hi:[0,0,1]
	v_pk_add_f32 v[52:53], v[72:73], v[52:53]
	v_mov_b32_e32 v72, v66
	v_mov_b32_e32 v73, v69
	v_pk_add_f32 v[106:107], v[106:107], v[0:1]
	v_mov_b32_e32 v135, v133
	v_pk_add_f32 v[72:73], v[72:73], v[106:107]
	v_mov_b32_e32 v106, v112
	v_mov_b32_e32 v107, v115
	v_pk_mul_f32 v[132:133], v[118:119], s[6:7]
	v_pk_add_f32 v[54:55], v[134:135], v[54:55]
	v_pk_add_f32 v[72:73], v[106:107], v[72:73]
	v_pk_fma_f32 v[106:107], v[104:105], s[0:1], v[132:133]
	v_pk_fma_f32 v[134:135], v[104:105], s[0:1], v[132:133] neg_lo:[0,0,1] neg_hi:[0,0,1]
	v_mov_b32_e32 v142, v140
	v_mov_b32_e32 v134, v106
	v_pk_mul_f32 v[136:137], v[120:121], s[52:53]
	v_pk_add_f32 v[140:141], v[142:143], v[0:1]
	v_pk_add_f32 v[72:73], v[134:135], v[72:73]
	v_pk_fma_f32 v[134:135], v[108:109], s[46:47], v[136:137]
	v_pk_fma_f32 v[138:139], v[108:109], s[46:47], v[136:137] neg_lo:[0,0,1] neg_hi:[0,0,1]
	v_mov_b32_e32 v146, v148
	v_pk_fma_f32 v[118:119], v[118:119], s[36:37], v[150:151] neg_lo:[0,0,1] neg_hi:[0,0,1]
	v_pk_add_f32 v[130:131], v[130:131], v[140:141]
	v_mov_b32_e32 v138, v134
	v_pk_mul_f32 v[144:145], v[126:127], s[28:29]
	v_mov_b32_e32 v119, v153
	v_pk_fma_f32 v[120:121], v[120:121], s[14:15], v[154:155] neg_lo:[0,0,1] neg_hi:[0,0,1]
	v_pk_add_f32 v[130:131], v[146:147], v[130:131]
	v_pk_add_f32 v[72:73], v[138:139], v[72:73]
	v_pk_fma_f32 v[138:139], v[110:111], s[22:23], v[144:145]
	v_pk_fma_f32 v[166:167], v[110:111], s[22:23], v[144:145] neg_lo:[0,0,1] neg_hi:[0,0,1]
	v_mov_b32_e32 v121, v125
	v_pk_fma_f32 v[126:127], v[126:127], s[44:45], v[60:61] neg_lo:[0,0,1] neg_hi:[0,0,1]
	v_pk_add_f32 v[118:119], v[118:119], v[130:131]
	v_mov_b32_e32 v166, v138
	v_pk_mul_f32 v[168:169], v[128:129], s[20:21]
	v_mov_b32_e32 v127, v157
	v_pk_fma_f32 v[128:129], v[128:129], s[6:7], v[162:163] neg_lo:[0,0,1] neg_hi:[0,0,1]
	v_pk_add_f32 v[118:119], v[120:121], v[118:119]
	v_pk_add_f32 v[72:73], v[166:167], v[72:73]
	v_pk_fma_f32 v[166:167], v[116:117], s[18:19], v[168:169]
	v_pk_fma_f32 v[176:177], v[116:117], s[18:19], v[168:169] neg_lo:[0,0,1] neg_hi:[0,0,1]
	v_mov_b32_e32 v129, v165
	v_pk_add_f32 v[118:119], v[126:127], v[118:119]
	v_pk_mul_f32 v[120:121], v[58:59], s[26:27]
	v_mov_b32_e32 v176, v166
	v_pk_add_f32 v[126:127], v[128:129], v[118:119]
	v_pk_fma_f32 v[118:119], v[70:71], s[24:25], v[120:121]
	v_pk_fma_f32 v[58:59], v[70:71], s[24:25], v[120:121] neg_lo:[0,0,1] neg_hi:[0,0,1]
	v_pk_add_f32 v[72:73], v[176:177], v[72:73]
	v_mov_b32_e32 v58, v118
	v_pk_add_f32 v[46:47], v[234:235], v[46:47]
	v_pk_add_f32 v[72:73], v[58:59], v[72:73]
	;; [unrolled: 1-line block ×3, first 2 shown]
	v_mul_lo_u16_e32 v66, 17, v232
	s_barrier
	s_and_saveexec_b64 s[6:7], vcc
	s_cbranch_execz .LBB0_7
; %bb.6:
	v_pk_add_f32 v[2:3], v[2:3], v[0:1]
	v_pk_mul_f32 v[64:65], v[64:65], s[0:1]
	v_pk_add_f32 v[2:3], v[28:29], v[2:3]
	v_pk_mul_f32 v[142:143], v[86:87], s[38:39]
	v_pk_add_f32 v[2:3], v[30:31], v[2:3]
	v_pk_add_f32 v[62:63], v[62:63], v[64:65] neg_lo:[0,1] neg_hi:[0,1]
	v_pk_add_f32 v[2:3], v[24:25], v[2:3]
	v_pk_add_f32 v[64:65], v[172:173], v[142:143] neg_lo:[0,1] neg_hi:[0,1]
	v_pk_add_f32 v[2:3], v[26:27], v[2:3]
	v_mov_b32_e32 v65, v171
	v_pk_add_f32 v[2:3], v[20:21], v[2:3]
	v_pk_mul_f32 v[76:77], v[104:105], s[0:1]
	v_pk_add_f32 v[2:3], v[22:23], v[2:3]
	v_mov_b32_e32 v69, v67
	v_pk_add_f32 v[2:3], v[16:17], v[2:3]
	v_mov_b32_e32 v115, v113
	v_pk_add_f32 v[2:3], v[18:19], v[2:3]
	v_pk_mul_f32 v[126:127], v[108:109], s[46:47]
	v_pk_add_f32 v[2:3], v[12:13], v[2:3]
	v_pk_mul_f32 v[128:129], v[110:111], s[22:23]
	;; [unrolled: 2-line block ×5, first 2 shown]
	v_pk_add_f32 v[2:3], v[4:5], v[2:3]
	v_pk_add_f32 v[4:5], v[64:65], v[0:1]
	;; [unrolled: 1-line block ×4, first 2 shown]
	v_pk_add_f32 v[6:7], v[132:133], v[76:77] neg_lo:[0,1] neg_hi:[0,1]
	v_pk_add_f32 v[4:5], v[114:115], v[4:5]
	v_mov_b32_e32 v7, v107
	v_pk_add_f32 v[4:5], v[6:7], v[4:5]
	v_pk_add_f32 v[6:7], v[136:137], v[126:127] neg_lo:[0,1] neg_hi:[0,1]
	v_pk_add_f32 v[86:87], v[98:99], v[86:87] neg_lo:[0,1] neg_hi:[0,1]
	v_mov_b32_e32 v7, v135
	v_pk_add_f32 v[4:5], v[6:7], v[4:5]
	v_pk_add_f32 v[6:7], v[144:145], v[128:129] neg_lo:[0,1] neg_hi:[0,1]
	v_mov_b32_e32 v87, v97
	v_mov_b32_e32 v7, v139
	v_pk_add_f32 v[4:5], v[6:7], v[4:5]
	v_pk_add_f32 v[6:7], v[168:169], v[130:131] neg_lo:[0,1] neg_hi:[0,1]
	v_pk_mul_f32 v[104:105], v[104:105], s[24:25]
	v_mov_b32_e32 v7, v167
	v_pk_add_f32 v[4:5], v[6:7], v[4:5]
	v_pk_add_f32 v[6:7], v[120:121], v[140:141] neg_lo:[0,1] neg_hi:[0,1]
	v_mov_b32_e32 v63, v75
	v_mov_b32_e32 v7, v119
	v_add_lshl_u32 v24, v231, v66, 3
	v_pk_add_f32 v[2:3], v[56:57], v[2:3]
	v_pk_add_f32 v[4:5], v[6:7], v[4:5]
	;; [unrolled: 1-line block ×3, first 2 shown]
	ds_write2_b64 v24, v[2:3], v[4:5] offset1:1
	v_pk_add_f32 v[0:1], v[62:63], v[0:1]
	v_mov_b32_e32 v81, v79
	v_pk_add_f32 v[2:3], v[84:85], v[104:105] neg_lo:[0,1] neg_hi:[0,1]
	v_pk_mul_f32 v[108:109], v[108:109], s[16:17]
	v_pk_add_f32 v[0:1], v[80:81], v[0:1]
	v_mov_b32_e32 v3, v83
	v_pk_add_f32 v[0:1], v[2:3], v[0:1]
	v_pk_add_f32 v[2:3], v[90:91], v[108:109] neg_lo:[0,1] neg_hi:[0,1]
	v_pk_mul_f32 v[110:111], v[110:111], s[30:31]
	v_mov_b32_e32 v3, v89
	v_pk_add_f32 v[0:1], v[2:3], v[0:1]
	v_pk_add_f32 v[2:3], v[94:95], v[110:111] neg_lo:[0,1] neg_hi:[0,1]
	v_pk_mul_f32 v[116:117], v[116:117], s[34:35]
	;; [unrolled: 4-line block ×3, first 2 shown]
	v_mov_b32_e32 v3, v101
	v_pk_add_f32 v[0:1], v[2:3], v[0:1]
	v_pk_add_f32 v[2:3], v[228:229], v[70:71] neg_lo:[0,1] neg_hi:[0,1]
	s_nop 0
	v_mov_b32_e32 v3, v123
	v_pk_add_f32 v[0:1], v[2:3], v[0:1]
	ds_write2_b64 v24, v[0:1], v[58:59] offset0:2 offset1:3
	ds_write2_b64 v24, v[36:37], v[38:39] offset0:4 offset1:5
	;; [unrolled: 1-line block ×7, first 2 shown]
	ds_write_b64 v24, v[72:73] offset:128
.LBB0_7:
	s_or_b64 exec, exec, s[6:7]
	v_lshlrev_b32_e32 v0, 4, v232
	s_load_dwordx4 s[0:3], s[2:3], 0x0
	s_waitcnt lgkmcnt(0)
	s_barrier
	global_load_dwordx4 v[0:3], v0, s[4:5]
	v_add_lshl_u32 v113, v231, v232, 3
	ds_read2_b64 v[6:9], v113 offset1:17
	ds_read_b64 v[4:5], v113 offset:272
	s_mov_b32 s4, 0x3f5db3d7
	v_lshl_add_u32 v234, v232, 3, v174
	s_waitcnt vmcnt(0) lgkmcnt(1)
	v_pk_mul_f32 v[10:11], v[8:9], v[0:1] op_sel:[0,1]
	v_mov_b32_e32 v12, v3
	v_pk_fma_f32 v[14:15], v[8:9], v[0:1], v[10:11] op_sel:[1,0,0] op_sel_hi:[0,1,1]
	v_pk_fma_f32 v[8:9], v[8:9], v[0:1], v[10:11] op_sel:[1,0,0] op_sel_hi:[0,0,1] neg_lo:[0,0,1] neg_hi:[0,0,1]
	s_waitcnt lgkmcnt(0)
	v_pk_mul_f32 v[10:11], v[4:5], v[12:13] op_sel_hi:[1,0]
	v_mov_b32_e32 v15, v9
	v_pk_fma_f32 v[12:13], v[4:5], v[2:3], v[10:11] op_sel:[1,0,0] op_sel_hi:[0,1,1]
	v_pk_fma_f32 v[4:5], v[4:5], v[2:3], v[10:11] op_sel:[1,0,0] op_sel_hi:[0,0,1] neg_lo:[0,0,1] neg_hi:[0,0,1]
	v_mov_b32_e32 v8, v9
	v_mov_b32_e32 v9, v14
	;; [unrolled: 1-line block ×5, first 2 shown]
	v_pk_add_f32 v[10:11], v[6:7], v[8:9]
	v_pk_add_f32 v[8:9], v[8:9], v[4:5]
	v_pk_add_f32 v[12:13], v[14:15], v[12:13] neg_lo:[0,1] neg_hi:[0,1]
	v_pk_fma_f32 v[6:7], -0.5, v[8:9], v[6:7] op_sel_hi:[0,1,1]
	v_pk_fma_f32 v[8:9], v[12:13], s[4:5], v[6:7] op_sel_hi:[1,0,1]
	v_pk_fma_f32 v[56:57], v[12:13], s[4:5], v[6:7] op_sel_hi:[1,0,1] neg_lo:[1,0,0] neg_hi:[1,0,0]
	v_pk_add_f32 v[4:5], v[10:11], v[4:5]
	v_mov_b32_e32 v6, v8
	v_mov_b32_e32 v7, v57
	;; [unrolled: 1-line block ×3, first 2 shown]
	ds_write2_b64 v234, v[4:5], v[6:7] offset1:17
	ds_write_b64 v234, v[56:57] offset:272
	s_waitcnt lgkmcnt(0)
	s_barrier
	s_and_saveexec_b64 s[4:5], vcc
	s_cbranch_execz .LBB0_9
; %bb.8:
	global_load_dwordx2 v[68:69], v159, s[8:9] offset:408
	s_add_u32 s6, s8, 0x198
	s_addc_u32 s7, s9, 0
	global_load_dwordx2 v[70:71], v159, s[6:7] offset:24
	global_load_dwordx2 v[74:75], v159, s[6:7] offset:48
	;; [unrolled: 1-line block ×15, first 2 shown]
	ds_read2_b64 v[8:11], v234 offset1:3
	ds_read2_b64 v[12:15], v234 offset0:6 offset1:9
	global_load_dwordx2 v[102:103], v159, s[6:7] offset:384
	ds_read2_b64 v[16:19], v234 offset0:12 offset1:15
	ds_read2_b64 v[20:23], v234 offset0:18 offset1:21
	;; [unrolled: 1-line block ×5, first 2 shown]
	s_waitcnt vmcnt(13) lgkmcnt(5)
	v_mul_f32_e32 v61, v15, v77
	s_waitcnt vmcnt(12) lgkmcnt(4)
	v_mul_f32_e32 v67, v17, v79
	s_waitcnt vmcnt(11)
	v_mul_f32_e32 v106, v19, v81
	s_waitcnt vmcnt(10) lgkmcnt(3)
	v_mul_f32_e32 v107, v21, v83
	s_waitcnt vmcnt(9)
	;; [unrolled: 4-line block ×4, first 2 shown]
	v_mul_f32_e32 v112, v31, v93
	v_mul_f32_e32 v60, v9, v69
	;; [unrolled: 1-line block ×3, first 2 shown]
	v_fma_f32 v104, v8, v68, -v60
	v_fmac_f32_e32 v105, v9, v68
	v_mul_f32_e32 v8, v11, v71
	v_mul_f32_e32 v9, v10, v71
	;; [unrolled: 1-line block ×13, first 2 shown]
	v_fma_f32 v8, v10, v70, -v8
	v_fmac_f32_e32 v9, v11, v70
	v_fma_f32 v68, v12, v74, -v60
	v_fmac_f32_e32 v69, v13, v74
	;; [unrolled: 2-line block ×11, first 2 shown]
	ds_write2_b64 v234, v[104:105], v[8:9] offset1:3
	ds_write2_b64 v234, v[68:69], v[70:71] offset0:6 offset1:9
	ds_write2_b64 v234, v[74:75], v[76:77] offset0:12 offset1:15
	;; [unrolled: 1-line block ×5, first 2 shown]
	ds_read2_b64 v[8:11], v234 offset0:42 offset1:45
	s_waitcnt vmcnt(4) lgkmcnt(7)
	v_mul_f32_e32 v93, v63, v95
	v_mul_f32_e32 v91, v62, v95
	s_waitcnt vmcnt(3)
	v_mul_f32_e32 v95, v65, v97
	v_mul_f32_e32 v13, v64, v97
	v_fma_f32 v90, v62, v94, -v93
	v_fmac_f32_e32 v91, v63, v94
	v_fma_f32 v12, v64, v96, -v95
	v_fmac_f32_e32 v13, v65, v96
	ds_write2_b64 v234, v[90:91], v[12:13] offset0:36 offset1:39
	s_waitcnt vmcnt(2) lgkmcnt(1)
	v_mul_f32_e32 v12, v9, v99
	v_mul_f32_e32 v13, v8, v99
	v_fma_f32 v12, v8, v98, -v12
	v_fmac_f32_e32 v13, v9, v98
	ds_read_b64 v[8:9], v234 offset:384
	s_waitcnt vmcnt(1)
	v_mul_f32_e32 v14, v11, v101
	v_mul_f32_e32 v15, v10, v101
	v_fma_f32 v14, v10, v100, -v14
	v_fmac_f32_e32 v15, v11, v100
	s_waitcnt vmcnt(0) lgkmcnt(0)
	v_mul_f32_e32 v10, v9, v103
	v_mul_f32_e32 v11, v8, v103
	v_fma_f32 v10, v8, v102, -v10
	v_fmac_f32_e32 v11, v9, v102
	ds_write2_b64 v234, v[12:13], v[14:15] offset0:42 offset1:45
	ds_write_b64 v234, v[10:11] offset:384
.LBB0_9:
	s_or_b64 exec, exec, s[4:5]
	s_waitcnt lgkmcnt(0)
	s_barrier
	s_and_saveexec_b64 s[4:5], vcc
	s_cbranch_execz .LBB0_11
; %bb.10:
	ds_read2_b64 v[4:7], v234 offset1:3
	ds_read2_b64 v[56:59], v234 offset0:6 offset1:9
	ds_read2_b64 v[36:39], v234 offset0:12 offset1:15
	;; [unrolled: 1-line block ×7, first 2 shown]
	ds_read_b64 v[72:73], v234 offset:384
.LBB0_11:
	s_or_b64 exec, exec, s[4:5]
	v_mov_b32_e32 v10, v0
	v_mov_b32_e32 v11, v0
	;; [unrolled: 1-line block ×6, first 2 shown]
	s_waitcnt lgkmcnt(0)
	s_barrier
	s_and_saveexec_b64 s[4:5], vcc
	s_cbranch_execz .LBB0_13
; %bb.12:
	v_pk_add_f32 v[12:13], v[6:7], v[4:5]
	v_pk_add_f32 v[122:123], v[6:7], v[72:73] neg_lo:[0,1] neg_hi:[0,1]
	v_pk_add_f32 v[12:13], v[56:57], v[12:13]
	s_mov_b32 s6, 0x3f6eb680
	v_pk_add_f32 v[12:13], v[58:59], v[12:13]
	s_mov_b32 s38, 0xbeb8f4ab
	v_pk_add_f32 v[12:13], v[36:37], v[12:13]
	v_pk_add_f32 v[86:87], v[52:53], v[54:55]
	v_pk_add_f32 v[12:13], v[38:39], v[12:13]
	v_pk_add_f32 v[68:69], v[52:53], v[54:55] neg_lo:[0,1] neg_hi:[0,1]
	v_pk_add_f32 v[12:13], v[44:45], v[12:13]
	v_pk_add_f32 v[114:115], v[72:73], v[6:7]
	;; [unrolled: 1-line block ×3, first 2 shown]
	v_pk_add_f32 v[110:111], v[56:57], v[34:35] neg_lo:[0,1] neg_hi:[0,1]
	v_pk_add_f32 v[12:13], v[52:53], v[12:13]
	s_mov_b32 s7, 0x3eb8f4ab
	v_pk_add_f32 v[12:13], v[54:55], v[12:13]
	s_mov_b32 s22, 0x3f3d2fb0
	;; [unrolled: 2-line block ×3, first 2 shown]
	v_pk_add_f32 v[12:13], v[50:51], v[12:13]
	v_pk_add_f32 v[108:109], v[34:35], v[56:57]
	;; [unrolled: 1-line block ×3, first 2 shown]
	s_mov_b32 s23, 0x3f2c7751
	v_pk_add_f32 v[12:13], v[42:43], v[12:13]
	v_pk_mul_f32 v[16:17], v[110:111], s[46:47] op_sel_hi:[1,0]
	v_pk_add_f32 v[12:13], v[32:33], v[12:13]
	v_pk_fma_f32 v[20:21], v[108:109], s[22:23], v[16:17] op_sel:[0,0,1] op_sel_hi:[1,0,0]
	v_pk_add_f32 v[12:13], v[34:35], v[12:13]
	v_pk_fma_f32 v[16:17], v[108:109], s[22:23], v[16:17] op_sel:[0,0,1] op_sel_hi:[1,0,0] neg_lo:[0,0,1] neg_hi:[0,0,1]
	v_pk_add_f32 v[52:53], v[72:73], v[12:13]
	v_pk_mul_f32 v[12:13], v[122:123], s[38:39] op_sel_hi:[1,0]
	v_pk_add_f32 v[102:103], v[58:59], v[32:33] neg_lo:[0,1] neg_hi:[0,1]
	v_pk_fma_f32 v[14:15], v[114:115], s[6:7], v[12:13] op_sel:[0,0,1] op_sel_hi:[1,0,0]
	v_pk_fma_f32 v[12:13], v[114:115], s[6:7], v[12:13] op_sel:[0,0,1] op_sel_hi:[1,0,0] neg_lo:[0,0,1] neg_hi:[0,0,1]
	v_accvgpr_write_b32 a1, v15
	v_mov_b32_e32 v15, v13
	v_pk_add_f32 v[18:19], v[4:5], v[14:15]
	v_accvgpr_write_b32 a3, v21
	v_mov_b32_e32 v21, v17
	s_mov_b32 s16, 0x3ee437d1
	s_mov_b32 s50, 0xbf65296c
	v_pk_add_f32 v[100:101], v[32:33], v[58:59]
	v_pk_add_f32 v[22:23], v[20:21], v[18:19]
	s_mov_b32 s17, 0x3f65296c
	v_pk_mul_f32 v[20:21], v[102:103], s[50:51] op_sel_hi:[1,0]
	s_mov_b32 s10, 0x3dbcf732
	v_pk_fma_f32 v[26:27], v[100:101], s[16:17], v[20:21] op_sel:[0,0,1] op_sel_hi:[1,0,0]
	v_pk_fma_f32 v[20:21], v[100:101], s[16:17], v[20:21] op_sel:[0,0,1] op_sel_hi:[1,0,0] neg_lo:[0,0,1] neg_hi:[0,0,1]
	v_pk_add_f32 v[94:95], v[36:37], v[42:43]
	v_pk_add_f32 v[24:25], v[36:37], v[42:43] neg_lo:[0,1] neg_hi:[0,1]
	v_accvgpr_write_b32 a5, v27
	v_mov_b32_e32 v27, v21
	s_mov_b32 s11, 0xbf7ee86f
	v_pk_add_f32 v[28:29], v[26:27], v[22:23]
	v_mov_b32_e32 v22, v94
	v_mov_b32_e32 v94, v25
	s_mov_b32 s40, s11
	s_mov_b32 s41, s10
	v_mov_b32_e32 v23, v24
	v_pk_mul_f32 v[14:15], v[94:95], s[40:41]
	s_mov_b32 s14, 0xbe8c1d8e
	v_pk_fma_f32 v[6:7], v[22:23], s[10:11], v[14:15]
	v_pk_fma_f32 v[32:33], v[22:23], s[10:11], v[14:15] neg_lo:[1,0,0] neg_hi:[1,0,0]
	v_pk_add_f32 v[92:93], v[38:39], v[40:41]
	v_pk_add_f32 v[30:31], v[38:39], v[40:41] neg_lo:[0,1] neg_hi:[0,1]
	v_mov_b32_e32 v32, v6
	s_mov_b32 s15, 0xbf763a35
	v_accvgpr_write_b32 a8, v14
	v_pk_add_f32 v[34:35], v[32:33], v[28:29]
	v_mov_b32_e32 v28, v92
	v_mov_b32_e32 v92, v31
	s_mov_b32 s34, s15
	s_mov_b32 s35, s14
	v_accvgpr_write_b32 a9, v15
	v_mov_b32_e32 v29, v30
	v_pk_mul_f32 v[14:15], v[92:93], s[34:35]
	v_accvgpr_write_b32 a7, v7
	v_pk_fma_f32 v[6:7], v[28:29], s[14:15], v[14:15]
	v_pk_fma_f32 v[36:37], v[28:29], s[14:15], v[14:15] neg_lo:[1,0,0] neg_hi:[1,0,0]
	s_mov_b32 s18, 0xbf1a4643
	v_pk_add_f32 v[90:91], v[44:45], v[50:51]
	v_pk_add_f32 v[62:63], v[44:45], v[50:51] neg_lo:[0,1] neg_hi:[0,1]
	v_mov_b32_e32 v36, v6
	s_mov_b32 s19, 0xbf4c4adb
	v_accvgpr_write_b32 a12, v14
	v_pk_add_f32 v[40:41], v[36:37], v[34:35]
	v_mov_b32_e32 v34, v90
	v_mov_b32_e32 v90, v63
	s_mov_b32 s36, s19
	s_mov_b32 s37, s18
	v_accvgpr_write_b32 a13, v15
	v_mov_b32_e32 v35, v62
	v_pk_mul_f32 v[14:15], v[90:91], s[36:37]
	v_accvgpr_write_b32 a11, v7
	v_pk_fma_f32 v[6:7], v[34:35], s[18:19], v[14:15]
	v_pk_fma_f32 v[42:43], v[34:35], s[18:19], v[14:15] neg_lo:[1,0,0] neg_hi:[1,0,0]
	s_mov_b32 s20, 0xbf59a7d5
	v_pk_add_f32 v[88:89], v[46:47], v[48:49]
	v_pk_add_f32 v[64:65], v[46:47], v[48:49] neg_lo:[0,1] neg_hi:[0,1]
	v_mov_b32_e32 v42, v6
	s_mov_b32 s21, 0xbf06c442
	v_pk_add_f32 v[46:47], v[42:43], v[40:41]
	v_mov_b32_e32 v40, v88
	v_mov_b32_e32 v88, v65
	s_mov_b32 s56, s21
	s_mov_b32 s57, s20
	v_mov_b32_e32 v41, v64
	v_pk_mul_f32 v[62:63], v[88:89], s[56:57]
	v_accvgpr_write_b32 a15, v7
	v_pk_fma_f32 v[6:7], v[40:41], s[20:21], v[62:63]
	v_pk_fma_f32 v[48:49], v[40:41], s[20:21], v[62:63] neg_lo:[1,0,0] neg_hi:[1,0,0]
	s_mov_b32 s24, 0xbf7ba420
	v_mov_b32_e32 v48, v6
	s_mov_b32 s25, 0xbe3c28d5
	v_pk_mul_f32 v[76:77], v[122:123], s[46:47] op_sel_hi:[1,0]
	v_pk_add_f32 v[54:55], v[48:49], v[46:47]
	v_mov_b32_e32 v46, v86
	v_mov_b32_e32 v86, v69
	s_mov_b32 s48, s25
	s_mov_b32 s49, s24
	v_pk_fma_f32 v[48:49], v[114:115], s[22:23], v[76:77] op_sel:[0,0,1] op_sel_hi:[1,0,0]
	v_pk_fma_f32 v[76:77], v[114:115], s[22:23], v[76:77] op_sel:[0,0,1] op_sel_hi:[1,0,0] neg_lo:[0,0,1] neg_hi:[0,0,1]
	s_mov_b32 s54, s11
	v_mov_b32_e32 v47, v68
	v_pk_mul_f32 v[50:51], v[86:87], s[48:49]
	v_mov_b32_e32 v78, v48
	v_mov_b32_e32 v79, v77
	v_pk_mul_f32 v[80:81], v[110:111], s[54:55] op_sel_hi:[1,0]
	v_accvgpr_write_b32 a19, v7
	v_pk_fma_f32 v[6:7], v[46:47], s[24:25], v[50:51]
	v_pk_fma_f32 v[56:57], v[46:47], s[24:25], v[50:51] neg_lo:[1,0,0] neg_hi:[1,0,0]
	v_pk_add_f32 v[82:83], v[4:5], v[78:79]
	v_pk_fma_f32 v[78:79], v[108:109], s[10:11], v[80:81] op_sel:[0,0,1] op_sel_hi:[1,0,0]
	v_pk_fma_f32 v[80:81], v[108:109], s[10:11], v[80:81] op_sel:[0,0,1] op_sel_hi:[1,0,0] neg_lo:[0,0,1] neg_hi:[0,0,1]
	v_mov_b32_e32 v56, v6
	s_mov_b32 s27, 0x3f06c442
	v_mov_b32_e32 v84, v78
	v_mov_b32_e32 v85, v81
	s_mov_b32 s62, s19
	v_lshl_add_u32 v235, v66, 3, v174
	v_pk_add_f32 v[54:55], v[56:57], v[54:55]
	s_mov_b32 s28, s27
	s_mov_b32 s29, s20
	v_pk_add_f32 v[116:117], v[84:85], v[82:83]
	v_pk_mul_f32 v[84:85], v[102:103], s[62:63] op_sel_hi:[1,0]
	ds_write2_b64 v235, v[52:53], v[54:55] offset1:1
	v_pk_mul_f32 v[54:55], v[94:95], s[48:49]
	v_pk_mul_f32 v[58:59], v[92:93], s[28:29]
	s_mov_b32 s29, 0x3f763a35
	v_pk_fma_f32 v[82:83], v[100:101], s[18:19], v[84:85] op_sel:[0,0,1] op_sel_hi:[1,0,0]
	v_pk_fma_f32 v[84:85], v[100:101], s[18:19], v[84:85] op_sel:[0,0,1] op_sel_hi:[1,0,0] neg_lo:[0,0,1] neg_hi:[0,0,1]
	v_pk_mul_f32 v[130:131], v[122:123], s[50:51] op_sel_hi:[1,0]
	v_accvgpr_write_b32 a21, v7
	v_pk_fma_f32 v[6:7], v[22:23], s[24:25], v[54:55]
	v_pk_fma_f32 v[96:97], v[22:23], s[24:25], v[54:55] neg_lo:[1,0,0] neg_hi:[1,0,0]
	s_mov_b32 s26, s20
	s_mov_b32 s30, s29
	;; [unrolled: 1-line block ×3, first 2 shown]
	v_mov_b32_e32 v118, v82
	v_mov_b32_e32 v119, v85
	v_pk_fma_f32 v[42:43], v[114:115], s[16:17], v[130:131] op_sel:[0,0,1] op_sel_hi:[1,0,0]
	v_pk_fma_f32 v[130:131], v[114:115], s[16:17], v[130:131] op_sel:[0,0,1] op_sel_hi:[1,0,0] neg_lo:[0,0,1] neg_hi:[0,0,1]
	v_mov_b32_e32 v96, v6
	v_accvgpr_write_b32 a23, v7
	v_pk_fma_f32 v[6:7], v[28:29], s[26:27], v[58:59]
	v_pk_fma_f32 v[98:99], v[28:29], s[26:27], v[58:59] neg_lo:[1,0,0] neg_hi:[1,0,0]
	s_mov_b32 s28, s14
	v_pk_mul_f32 v[64:65], v[90:91], s[30:31]
	s_mov_b32 s44, s17
	s_mov_b32 s45, s16
	v_pk_add_f32 v[116:117], v[118:119], v[116:117]
	v_mov_b32_e32 v132, v42
	v_mov_b32_e32 v133, v131
	v_pk_mul_f32 v[134:135], v[110:111], s[62:63] op_sel_hi:[1,0]
	v_mov_b32_e32 v98, v6
	v_accvgpr_write_b32 a25, v7
	v_pk_fma_f32 v[6:7], v[34:35], s[28:29], v[64:65]
	v_pk_fma_f32 v[104:105], v[34:35], s[28:29], v[64:65] neg_lo:[1,0,0] neg_hi:[1,0,0]
	v_pk_mul_f32 v[68:69], v[88:89], s[44:45]
	s_mov_b32 s42, s7
	s_mov_b32 s43, s6
	v_pk_add_f32 v[96:97], v[96:97], v[116:117]
	v_pk_add_f32 v[136:137], v[4:5], v[132:133]
	v_pk_fma_f32 v[132:133], v[108:109], s[18:19], v[134:135] op_sel:[0,0,1] op_sel_hi:[1,0,0]
	v_pk_fma_f32 v[134:135], v[108:109], s[18:19], v[134:135] op_sel:[0,0,1] op_sel_hi:[1,0,0] neg_lo:[0,0,1] neg_hi:[0,0,1]
	v_mov_b32_e32 v104, v6
	v_pk_fma_f32 v[56:57], v[40:41], s[16:17], v[68:69]
	v_pk_fma_f32 v[106:107], v[40:41], s[16:17], v[68:69] neg_lo:[1,0,0] neg_hi:[1,0,0]
	v_pk_mul_f32 v[72:73], v[86:87], s[42:43]
	v_pk_add_f32 v[96:97], v[98:99], v[96:97]
	v_pk_mul_f32 v[30:31], v[88:89], s[40:41]
	v_mov_b32_e32 v138, v132
	v_mov_b32_e32 v139, v135
	s_mov_b32 s40, 0x3e3c28d5
	v_mov_b32_e32 v106, v56
	v_pk_fma_f32 v[52:53], v[46:47], s[6:7], v[72:73]
	v_mov_b32_e32 v56, v113
	v_pk_fma_f32 v[112:113], v[46:47], s[6:7], v[72:73] neg_lo:[1,0,0] neg_hi:[1,0,0]
	v_pk_add_f32 v[96:97], v[104:105], v[96:97]
	v_pk_add_f32 v[152:153], v[138:139], v[136:137]
	v_pk_mul_f32 v[138:139], v[102:103], s[40:41] op_sel_hi:[1,0]
	v_mov_b32_e32 v112, v52
	v_pk_add_f32 v[96:97], v[106:107], v[96:97]
	v_pk_mul_f32 v[98:99], v[94:95], s[30:31]
	s_mov_b32 s52, s23
	s_mov_b32 s53, s22
	v_pk_fma_f32 v[136:137], v[100:101], s[24:25], v[138:139] op_sel:[0,0,1] op_sel_hi:[1,0,0]
	v_pk_fma_f32 v[138:139], v[100:101], s[24:25], v[138:139] op_sel:[0,0,1] op_sel_hi:[1,0,0] neg_lo:[0,0,1] neg_hi:[0,0,1]
	v_pk_add_f32 v[140:141], v[112:113], v[96:97]
	v_pk_fma_f32 v[96:97], v[22:23], s[28:29], v[98:99]
	v_pk_fma_f32 v[142:143], v[22:23], s[28:29], v[98:99] neg_lo:[1,0,0] neg_hi:[1,0,0]
	v_pk_mul_f32 v[106:107], v[92:93], s[52:53]
	s_mov_b32 s39, s6
	v_mov_b32_e32 v154, v136
	v_mov_b32_e32 v155, v139
	;; [unrolled: 1-line block ×3, first 2 shown]
	v_pk_fma_f32 v[104:105], v[28:29], s[22:23], v[106:107]
	v_pk_fma_f32 v[144:145], v[28:29], s[22:23], v[106:107] neg_lo:[1,0,0] neg_hi:[1,0,0]
	s_mov_b32 s30, s6
	s_mov_b32 s31, s38
	v_pk_mul_f32 v[116:117], v[90:91], s[38:39]
	v_pk_add_f32 v[152:153], v[154:155], v[152:153]
	v_pk_mul_f32 v[162:163], v[122:123], s[54:55] op_sel_hi:[1,0]
	v_mov_b32_e32 v144, v104
	v_pk_fma_f32 v[112:113], v[34:35], s[30:31], v[116:117]
	v_pk_fma_f32 v[146:147], v[34:35], s[30:31], v[116:117] neg_lo:[1,0,0] neg_hi:[1,0,0]
	v_pk_add_f32 v[142:143], v[142:143], v[152:153]
	v_pk_fma_f32 v[32:33], v[114:115], s[10:11], v[162:163] op_sel:[0,0,1] op_sel_hi:[1,0,0]
	v_pk_fma_f32 v[162:163], v[114:115], s[10:11], v[162:163] op_sel:[0,0,1] op_sel_hi:[1,0,0] neg_lo:[0,0,1] neg_hi:[0,0,1]
	s_mov_b32 s60, s25
	v_mov_b32_e32 v146, v112
	v_pk_fma_f32 v[118:119], v[40:41], s[10:11], v[30:31]
	v_pk_fma_f32 v[148:149], v[40:41], s[10:11], v[30:31] neg_lo:[1,0,0] neg_hi:[1,0,0]
	v_pk_mul_f32 v[26:27], v[86:87], s[56:57]
	v_pk_add_f32 v[142:143], v[144:145], v[142:143]
	v_mov_b32_e32 v164, v32
	v_mov_b32_e32 v165, v163
	v_pk_mul_f32 v[166:167], v[110:111], s[60:61] op_sel_hi:[1,0]
	v_mov_b32_e32 v148, v118
	v_pk_fma_f32 v[44:45], v[46:47], s[20:21], v[26:27]
	v_pk_fma_f32 v[150:151], v[46:47], s[20:21], v[26:27] neg_lo:[1,0,0] neg_hi:[1,0,0]
	v_pk_add_f32 v[142:143], v[146:147], v[142:143]
	v_pk_add_f32 v[168:169], v[4:5], v[164:165]
	v_pk_fma_f32 v[164:165], v[108:109], s[24:25], v[166:167] op_sel:[0,0,1] op_sel_hi:[1,0,0]
	v_pk_fma_f32 v[166:167], v[108:109], s[24:25], v[166:167] op_sel:[0,0,1] op_sel_hi:[1,0,0] neg_lo:[0,0,1] neg_hi:[0,0,1]
	v_mov_b32_e32 v150, v44
	v_pk_add_f32 v[142:143], v[148:149], v[142:143]
	v_mov_b32_e32 v170, v164
	v_mov_b32_e32 v171, v167
	s_mov_b32 s66, s29
	v_pk_add_f32 v[142:143], v[150:151], v[142:143]
	v_pk_add_f32 v[182:183], v[170:171], v[168:169]
	v_pk_mul_f32 v[170:171], v[102:103], s[66:67] op_sel_hi:[1,0]
	s_mov_b32 s68, s15
	ds_write2_b64 v235, v[140:141], v[142:143] offset0:2 offset1:3
	v_pk_mul_f32 v[142:143], v[94:95], s[42:43]
	s_mov_b32 s51, s16
	v_pk_fma_f32 v[168:169], v[100:101], s[14:15], v[170:171] op_sel:[0,0,1] op_sel_hi:[1,0,0]
	v_pk_fma_f32 v[170:171], v[100:101], s[14:15], v[170:171] op_sel:[0,0,1] op_sel_hi:[1,0,0] neg_lo:[0,0,1] neg_hi:[0,0,1]
	v_pk_mul_f32 v[194:195], v[122:123], s[68:69] op_sel_hi:[1,0]
	v_pk_fma_f32 v[140:141], v[22:23], s[6:7], v[142:143]
	v_pk_fma_f32 v[172:173], v[22:23], s[6:7], v[142:143] neg_lo:[1,0,0] neg_hi:[1,0,0]
	s_mov_b32 s40, s16
	s_mov_b32 s41, s50
	v_pk_mul_f32 v[146:147], v[92:93], s[50:51]
	s_mov_b32 s43, 0x3f4c4adb
	v_mov_b32_e32 v184, v168
	v_mov_b32_e32 v185, v171
	v_pk_fma_f32 v[192:193], v[114:115], s[14:15], v[194:195] op_sel:[0,0,1] op_sel_hi:[1,0,0]
	v_pk_fma_f32 v[194:195], v[114:115], s[14:15], v[194:195] op_sel:[0,0,1] op_sel_hi:[1,0,0] neg_lo:[0,0,1] neg_hi:[0,0,1]
	s_mov_b32 s68, s27
	v_mov_b32_e32 v172, v140
	v_pk_fma_f32 v[144:145], v[28:29], s[40:41], v[146:147]
	v_mov_b32_e32 v17, v175
	v_pk_fma_f32 v[174:175], v[28:29], s[40:41], v[146:147] neg_lo:[1,0,0] neg_hi:[1,0,0]
	v_pk_mul_f32 v[150:151], v[90:91], s[56:57]
	s_mov_b32 s64, s43
	s_mov_b32 s65, s18
	v_pk_add_f32 v[182:183], v[184:185], v[182:183]
	v_mov_b32_e32 v196, v192
	v_mov_b32_e32 v197, v195
	v_pk_mul_f32 v[198:199], v[110:111], s[68:69] op_sel_hi:[1,0]
	v_mov_b32_e32 v174, v144
	v_pk_fma_f32 v[148:149], v[34:35], s[20:21], v[150:151]
	v_pk_fma_f32 v[176:177], v[34:35], s[20:21], v[150:151] neg_lo:[1,0,0] neg_hi:[1,0,0]
	s_mov_b32 s42, s18
	v_pk_mul_f32 v[154:155], v[88:89], s[64:65]
	v_pk_add_f32 v[172:173], v[172:173], v[182:183]
	v_pk_add_f32 v[200:201], v[4:5], v[196:197]
	v_pk_fma_f32 v[196:197], v[108:109], s[20:21], v[198:199] op_sel:[0,0,1] op_sel_hi:[1,0,0]
	v_pk_fma_f32 v[198:199], v[108:109], s[20:21], v[198:199] op_sel:[0,0,1] op_sel_hi:[1,0,0] neg_lo:[0,0,1] neg_hi:[0,0,1]
	v_mov_b32_e32 v176, v148
	v_pk_fma_f32 v[152:153], v[40:41], s[42:43], v[154:155]
	v_pk_fma_f32 v[178:179], v[40:41], s[42:43], v[154:155] neg_lo:[1,0,0] neg_hi:[1,0,0]
	v_pk_mul_f32 v[24:25], v[86:87], s[52:53]
	v_pk_add_f32 v[172:173], v[174:175], v[172:173]
	v_mov_b32_e32 v202, v196
	v_mov_b32_e32 v203, v199
	s_mov_b32 s68, s23
	v_mov_b32_e32 v178, v152
	v_pk_fma_f32 v[36:37], v[46:47], s[22:23], v[24:25]
	v_pk_fma_f32 v[180:181], v[46:47], s[22:23], v[24:25] neg_lo:[1,0,0] neg_hi:[1,0,0]
	v_pk_add_f32 v[172:173], v[176:177], v[172:173]
	v_pk_add_f32 v[216:217], v[202:203], v[200:201]
	v_pk_mul_f32 v[202:203], v[102:103], s[68:69] op_sel_hi:[1,0]
	v_mov_b32_e32 v180, v36
	v_pk_add_f32 v[172:173], v[178:179], v[172:173]
	v_pk_mul_f32 v[174:175], v[94:95], s[50:51]
	s_mov_b32 s51, 0x3f7ee86f
	v_pk_fma_f32 v[200:201], v[100:101], s[22:23], v[202:203] op_sel:[0,0,1] op_sel_hi:[1,0,0]
	v_pk_fma_f32 v[202:203], v[100:101], s[22:23], v[202:203] op_sel:[0,0,1] op_sel_hi:[1,0,0] neg_lo:[0,0,1] neg_hi:[0,0,1]
	v_pk_add_f32 v[204:205], v[180:181], v[172:173]
	v_pk_fma_f32 v[172:173], v[22:23], s[40:41], v[174:175]
	v_pk_fma_f32 v[206:207], v[22:23], s[40:41], v[174:175] neg_lo:[1,0,0] neg_hi:[1,0,0]
	v_pk_mul_f32 v[178:179], v[92:93], s[48:49]
	s_mov_b32 s58, s51
	s_mov_b32 s59, s10
	v_mov_b32_e32 v218, v200
	v_mov_b32_e32 v219, v203
	;; [unrolled: 1-line block ×3, first 2 shown]
	v_pk_fma_f32 v[176:177], v[28:29], s[24:25], v[178:179]
	v_pk_fma_f32 v[208:209], v[28:29], s[24:25], v[178:179] neg_lo:[1,0,0] neg_hi:[1,0,0]
	s_mov_b32 s50, s10
	v_pk_mul_f32 v[182:183], v[90:91], s[58:59]
	v_pk_add_f32 v[216:217], v[218:219], v[216:217]
	v_mov_b32_e32 v208, v176
	v_pk_fma_f32 v[180:181], v[34:35], s[50:51], v[182:183]
	v_pk_fma_f32 v[210:211], v[34:35], s[50:51], v[182:183] neg_lo:[1,0,0] neg_hi:[1,0,0]
	v_pk_mul_f32 v[186:187], v[88:89], s[38:39]
	v_pk_add_f32 v[206:207], v[206:207], v[216:217]
	v_pk_mul_f32 v[226:227], v[122:123], s[62:63] op_sel_hi:[1,0]
	v_mov_b32_e32 v210, v180
	v_pk_fma_f32 v[184:185], v[40:41], s[30:31], v[186:187]
	v_pk_fma_f32 v[212:213], v[40:41], s[30:31], v[186:187] neg_lo:[1,0,0] neg_hi:[1,0,0]
	v_pk_mul_f32 v[190:191], v[86:87], s[36:37]
	v_pk_add_f32 v[206:207], v[208:209], v[206:207]
	v_pk_fma_f32 v[224:225], v[114:115], s[18:19], v[226:227] op_sel:[0,0,1] op_sel_hi:[1,0,0]
	v_pk_fma_f32 v[226:227], v[114:115], s[18:19], v[226:227] op_sel:[0,0,1] op_sel_hi:[1,0,0] neg_lo:[0,0,1] neg_hi:[0,0,1]
	v_pk_mul_f32 v[250:251], v[110:111], s[66:67] op_sel_hi:[1,0]
	v_mov_b32_e32 v212, v184
	v_pk_fma_f32 v[188:189], v[46:47], s[18:19], v[190:191]
	v_pk_fma_f32 v[214:215], v[46:47], s[18:19], v[190:191] neg_lo:[1,0,0] neg_hi:[1,0,0]
	v_pk_add_f32 v[206:207], v[210:211], v[206:207]
	v_mov_b32_e32 v248, v224
	v_mov_b32_e32 v249, v227
	v_pk_fma_f32 v[18:19], v[108:109], s[14:15], v[250:251] op_sel:[0,0,1] op_sel_hi:[1,0,0]
	v_pk_fma_f32 v[250:251], v[108:109], s[14:15], v[250:251] op_sel:[0,0,1] op_sel_hi:[1,0,0] neg_lo:[0,0,1] neg_hi:[0,0,1]
	v_mov_b32_e32 v214, v188
	v_pk_add_f32 v[206:207], v[212:213], v[206:207]
	v_pk_add_f32 v[248:249], v[4:5], v[248:249]
	v_mov_b32_e32 v254, v18
	v_mov_b32_e32 v255, v251
	v_accvgpr_write_b32 a17, v15
	v_pk_add_f32 v[206:207], v[214:215], v[206:207]
	v_pk_add_f32 v[248:249], v[254:255], v[248:249]
	v_pk_mul_f32 v[254:255], v[102:103], s[38:39] op_sel_hi:[1,0]
	v_accvgpr_write_b32 a16, v14
	ds_write2_b64 v235, v[204:205], v[206:207] offset0:4 offset1:5
	v_pk_mul_f32 v[206:207], v[94:95], s[56:57]
	v_pk_fma_f32 v[14:15], v[100:101], s[6:7], v[254:255] op_sel:[0,0,1] op_sel_hi:[1,0,0]
	v_pk_fma_f32 v[254:255], v[100:101], s[6:7], v[254:255] op_sel:[0,0,1] op_sel_hi:[1,0,0] neg_lo:[0,0,1] neg_hi:[0,0,1]
	v_pk_fma_f32 v[204:205], v[22:23], s[20:21], v[206:207]
	v_pk_fma_f32 v[238:239], v[22:23], s[20:21], v[206:207] neg_lo:[1,0,0] neg_hi:[1,0,0]
	v_pk_mul_f32 v[210:211], v[92:93], s[58:59]
	s_mov_b32 s47, s22
	v_mov_b32_e32 v18, v230
	v_mov_b32_e32 v230, v14
	;; [unrolled: 1-line block ×5, first 2 shown]
	v_pk_fma_f32 v[208:209], v[28:29], s[50:51], v[210:211]
	v_pk_fma_f32 v[240:241], v[28:29], s[50:51], v[210:211] neg_lo:[1,0,0] neg_hi:[1,0,0]
	s_mov_b32 s56, s22
	s_mov_b32 s57, s46
	v_pk_mul_f32 v[214:215], v[90:91], s[46:47]
	v_pk_add_f32 v[230:231], v[230:231], v[248:249]
	v_mov_b32_e32 v240, v208
	v_pk_fma_f32 v[212:213], v[34:35], s[56:57], v[214:215]
	v_pk_fma_f32 v[242:243], v[34:35], s[56:57], v[214:215] neg_lo:[1,0,0] neg_hi:[1,0,0]
	v_pk_mul_f32 v[218:219], v[88:89], s[48:49]
	v_pk_add_f32 v[230:231], v[238:239], v[230:231]
	v_mov_b32_e32 v242, v212
	v_pk_fma_f32 v[216:217], v[40:41], s[24:25], v[218:219]
	v_pk_fma_f32 v[244:245], v[40:41], s[24:25], v[218:219] neg_lo:[1,0,0] neg_hi:[1,0,0]
	v_pk_mul_f32 v[222:223], v[86:87], s[44:45]
	v_pk_add_f32 v[230:231], v[240:241], v[230:231]
	s_mov_b32 s46, s21
	v_mov_b32_e32 v244, v216
	v_pk_fma_f32 v[220:221], v[46:47], s[16:17], v[222:223]
	v_pk_fma_f32 v[246:247], v[46:47], s[16:17], v[222:223] neg_lo:[1,0,0] neg_hi:[1,0,0]
	v_pk_add_f32 v[230:231], v[242:243], v[230:231]
	v_pk_mul_f32 v[242:243], v[122:123], s[46:47] op_sel_hi:[1,0]
	s_mov_b32 s62, s17
	v_mov_b32_e32 v246, v220
	v_pk_add_f32 v[230:231], v[244:245], v[230:231]
	v_pk_fma_f32 v[244:245], v[114:115], s[20:21], v[242:243] op_sel:[0,0,1] op_sel_hi:[1,0,0]
	v_pk_fma_f32 v[242:243], v[114:115], s[20:21], v[242:243] op_sel:[0,0,1] op_sel_hi:[1,0,0] neg_lo:[0,0,1] neg_hi:[0,0,1]
	v_pk_mul_f32 v[248:249], v[110:111], s[62:63] op_sel_hi:[1,0]
	v_accvgpr_write_b32 a27, v7
	v_pk_add_f32 v[230:231], v[246:247], v[230:231]
	v_mov_b32_e32 v246, v244
	v_mov_b32_e32 v247, v243
	v_pk_fma_f32 v[6:7], v[108:109], s[16:17], v[248:249] op_sel:[0,0,1] op_sel_hi:[1,0,0]
	v_pk_fma_f32 v[248:249], v[108:109], s[16:17], v[248:249] op_sel:[0,0,1] op_sel_hi:[1,0,0] neg_lo:[0,0,1] neg_hi:[0,0,1]
	v_pk_add_f32 v[246:247], v[4:5], v[246:247]
	v_mov_b32_e32 v21, v232
	v_mov_b32_e32 v232, v6
	v_mov_b32_e32 v233, v249
	v_pk_add_f32 v[232:233], v[232:233], v[246:247]
	v_pk_mul_f32 v[246:247], v[102:103], s[54:55] op_sel_hi:[1,0]
	v_pk_mul_f32 v[238:239], v[94:95], s[64:65]
	v_pk_fma_f32 v[228:229], v[100:101], s[10:11], v[246:247] op_sel:[0,0,1] op_sel_hi:[1,0,0]
	v_pk_fma_f32 v[246:247], v[100:101], s[10:11], v[246:247] op_sel:[0,0,1] op_sel_hi:[1,0,0] neg_lo:[0,0,1] neg_hi:[0,0,1]
	v_mov_b32_e32 v236, v228
	v_mov_b32_e32 v237, v247
	v_pk_fma_f32 v[240:241], v[22:23], s[42:43], v[238:239]
	v_pk_add_f32 v[232:233], v[236:237], v[232:233]
	v_pk_fma_f32 v[236:237], v[22:23], s[42:43], v[238:239] neg_lo:[1,0,0] neg_hi:[1,0,0]
	v_mov_b32_e32 v6, v160
	v_mov_b32_e32 v236, v240
	v_pk_add_f32 v[232:233], v[236:237], v[232:233]
	v_pk_mul_f32 v[236:237], v[92:93], s[38:39]
	v_mov_b32_e32 v13, v161
	v_pk_fma_f32 v[156:157], v[28:29], s[30:31], v[236:237]
	v_pk_fma_f32 v[124:125], v[28:29], s[30:31], v[236:237] neg_lo:[1,0,0] neg_hi:[1,0,0]
	s_mov_b32 s38, s7
	v_mov_b32_e32 v124, v156
	v_pk_add_f32 v[124:125], v[124:125], v[232:233]
	v_pk_mul_f32 v[232:233], v[90:91], s[48:49]
	v_pk_mul_f32 v[110:111], v[110:111], s[38:39] op_sel_hi:[1,0]
	v_pk_fma_f32 v[252:253], v[34:35], s[24:25], v[232:233]
	v_pk_fma_f32 v[160:161], v[34:35], s[24:25], v[232:233] neg_lo:[1,0,0] neg_hi:[1,0,0]
	v_pk_mul_f32 v[102:103], v[102:103], s[46:47] op_sel_hi:[1,0]
	v_mov_b32_e32 v160, v252
	v_pk_add_f32 v[124:125], v[160:161], v[124:125]
	v_pk_mul_f32 v[160:161], v[88:89], s[52:53]
	v_pk_mul_f32 v[94:95], v[94:95], s[52:53]
	v_pk_fma_f32 v[66:67], v[40:41], s[22:23], v[160:161]
	v_pk_fma_f32 v[38:39], v[40:41], s[22:23], v[160:161] neg_lo:[1,0,0] neg_hi:[1,0,0]
	v_pk_mul_f32 v[92:93], v[92:93], s[36:37]
	v_mov_b32_e32 v38, v66
	v_pk_add_f32 v[38:39], v[38:39], v[124:125]
	v_pk_mul_f32 v[124:125], v[86:87], s[34:35]
	v_pk_fma_f32 v[120:121], v[28:29], s[18:19], v[92:93]
	v_pk_fma_f32 v[74:75], v[46:47], s[14:15], v[124:125]
	v_pk_fma_f32 v[70:71], v[46:47], s[14:15], v[124:125] neg_lo:[1,0,0] neg_hi:[1,0,0]
	v_pk_mul_f32 v[90:91], v[90:91], s[44:45]
	v_mov_b32_e32 v70, v74
	v_pk_add_f32 v[38:39], v[70:71], v[38:39]
	ds_write2_b64 v235, v[230:231], v[38:39] offset0:6 offset1:7
	v_pk_mul_f32 v[38:39], v[122:123], s[60:61] op_sel_hi:[1,0]
	v_pk_fma_f32 v[230:231], v[22:23], s[22:23], v[94:95] neg_lo:[1,0,0] neg_hi:[1,0,0]
	v_pk_fma_f32 v[70:71], v[114:115], s[24:25], v[38:39] op_sel:[0,0,1] op_sel_hi:[1,0,0]
	v_pk_fma_f32 v[38:39], v[114:115], s[24:25], v[38:39] op_sel:[0,0,1] op_sel_hi:[1,0,0] neg_lo:[0,0,1] neg_hi:[0,0,1]
	v_pk_fma_f32 v[114:115], v[108:109], s[6:7], v[110:111] op_sel:[0,0,1] op_sel_hi:[1,0,0]
	v_pk_fma_f32 v[108:109], v[108:109], s[6:7], v[110:111] op_sel:[0,0,1] op_sel_hi:[1,0,0] neg_lo:[0,0,1] neg_hi:[0,0,1]
	v_mov_b32_e32 v110, v70
	v_mov_b32_e32 v111, v39
	v_pk_add_f32 v[110:111], v[4:5], v[110:111]
	v_mov_b32_e32 v122, v114
	v_mov_b32_e32 v123, v109
	v_pk_add_f32 v[110:111], v[122:123], v[110:111]
	v_pk_fma_f32 v[122:123], v[100:101], s[20:21], v[102:103] op_sel:[0,0,1] op_sel_hi:[1,0,0]
	v_pk_fma_f32 v[100:101], v[100:101], s[20:21], v[102:103] op_sel:[0,0,1] op_sel_hi:[1,0,0] neg_lo:[0,0,1] neg_hi:[0,0,1]
	v_mov_b32_e32 v102, v122
	v_mov_b32_e32 v103, v101
	v_pk_add_f32 v[102:103], v[102:103], v[110:111]
	v_pk_fma_f32 v[110:111], v[22:23], s[22:23], v[94:95]
	v_mov_b32_e32 v39, v71
	v_mov_b32_e32 v230, v110
	v_pk_add_f32 v[102:103], v[230:231], v[102:103]
	v_pk_fma_f32 v[230:231], v[28:29], s[18:19], v[92:93] neg_lo:[1,0,0] neg_hi:[1,0,0]
	v_mov_b32_e32 v109, v115
	v_mov_b32_e32 v230, v120
	v_pk_add_f32 v[38:39], v[4:5], v[38:39]
	v_pk_add_f32 v[102:103], v[230:231], v[102:103]
	v_pk_fma_f32 v[126:127], v[34:35], s[16:17], v[90:91]
	v_pk_fma_f32 v[230:231], v[34:35], s[16:17], v[90:91] neg_lo:[1,0,0] neg_hi:[1,0,0]
	v_pk_fma_f32 v[94:95], v[22:23], s[22:23], v[94:95] neg_lo:[0,0,1] neg_hi:[0,0,1]
	v_pk_add_f32 v[38:39], v[108:109], v[38:39]
	v_mov_b32_e32 v101, v123
	v_mov_b32_e32 v230, v126
	v_pk_mul_f32 v[88:89], v[88:89], s[34:35]
	v_mov_b32_e32 v95, v111
	v_pk_fma_f32 v[92:93], v[28:29], s[18:19], v[92:93] neg_lo:[0,0,1] neg_hi:[0,0,1]
	v_pk_add_f32 v[38:39], v[100:101], v[38:39]
	v_pk_add_f32 v[102:103], v[230:231], v[102:103]
	v_pk_fma_f32 v[128:129], v[40:41], s[14:15], v[88:89]
	v_pk_fma_f32 v[230:231], v[40:41], s[14:15], v[88:89] neg_lo:[1,0,0] neg_hi:[1,0,0]
	v_mov_b32_e32 v93, v121
	v_pk_fma_f32 v[90:91], v[34:35], s[16:17], v[90:91] neg_lo:[0,0,1] neg_hi:[0,0,1]
	v_pk_add_f32 v[38:39], v[94:95], v[38:39]
	v_mov_b32_e32 v230, v128
	v_pk_mul_f32 v[86:87], v[86:87], s[58:59]
	v_mov_b32_e32 v91, v127
	v_pk_fma_f32 v[88:89], v[40:41], s[14:15], v[88:89] neg_lo:[0,0,1] neg_hi:[0,0,1]
	v_pk_add_f32 v[38:39], v[92:93], v[38:39]
	v_pk_add_f32 v[102:103], v[230:231], v[102:103]
	v_pk_fma_f32 v[60:61], v[46:47], s[50:51], v[86:87]
	v_pk_fma_f32 v[230:231], v[46:47], s[50:51], v[86:87] neg_lo:[1,0,0] neg_hi:[1,0,0]
	v_mov_b32_e32 v89, v129
	v_pk_fma_f32 v[86:87], v[46:47], s[50:51], v[86:87] neg_lo:[0,0,1] neg_hi:[0,0,1]
	v_pk_add_f32 v[38:39], v[90:91], v[38:39]
	v_mov_b32_e32 v87, v61
	v_pk_add_f32 v[38:39], v[88:89], v[38:39]
	v_mov_b32_e32 v230, v60
	v_pk_add_f32 v[38:39], v[86:87], v[38:39]
	v_pk_fma_f32 v[86:87], v[40:41], s[22:23], v[160:161] neg_lo:[0,0,1] neg_hi:[0,0,1]
	v_mov_b32_e32 v243, v245
	v_mov_b32_e32 v87, v67
	v_pk_fma_f32 v[66:67], v[46:47], s[14:15], v[124:125] neg_lo:[0,0,1] neg_hi:[0,0,1]
	v_pk_add_f32 v[102:103], v[230:231], v[102:103]
	v_mov_b32_e32 v67, v75
	v_pk_add_f32 v[74:75], v[4:5], v[242:243]
	v_mov_b32_e32 v249, v7
	ds_write2_b64 v235, v[102:103], v[38:39] offset0:8 offset1:9
	v_pk_fma_f32 v[38:39], v[22:23], s[42:43], v[238:239] neg_lo:[0,0,1] neg_hi:[0,0,1]
	v_mov_b32_e32 v160, v6
	v_pk_add_f32 v[6:7], v[248:249], v[74:75]
	v_mov_b32_e32 v247, v229
	v_mov_b32_e32 v39, v241
	v_pk_fma_f32 v[60:61], v[28:29], s[30:31], v[236:237] neg_lo:[0,0,1] neg_hi:[0,0,1]
	v_pk_add_f32 v[6:7], v[246:247], v[6:7]
	v_mov_b32_e32 v61, v157
	v_pk_fma_f32 v[70:71], v[34:35], s[24:25], v[232:233] neg_lo:[0,0,1] neg_hi:[0,0,1]
	v_pk_add_f32 v[6:7], v[38:39], v[6:7]
	v_mov_b32_e32 v71, v253
	v_pk_add_f32 v[6:7], v[60:61], v[6:7]
	v_mov_b32_e32 v227, v225
	;; [unrolled: 2-line block ×3, first 2 shown]
	v_pk_add_f32 v[6:7], v[86:87], v[6:7]
	v_pk_add_f32 v[86:87], v[4:5], v[226:227]
	v_mov_b32_e32 v230, v18
	v_pk_fma_f32 v[38:39], v[22:23], s[20:21], v[206:207] neg_lo:[0,0,1] neg_hi:[0,0,1]
	v_pk_add_f32 v[18:19], v[250:251], v[86:87]
	v_mov_b32_e32 v255, v15
	v_mov_b32_e32 v231, v14
	;; [unrolled: 1-line block ×3, first 2 shown]
	v_pk_fma_f32 v[60:61], v[28:29], s[50:51], v[210:211] neg_lo:[0,0,1] neg_hi:[0,0,1]
	v_pk_add_f32 v[14:15], v[254:255], v[18:19]
	v_pk_add_f32 v[6:7], v[66:67], v[6:7]
	v_mov_b32_e32 v61, v209
	v_pk_fma_f32 v[66:67], v[34:35], s[56:57], v[214:215] neg_lo:[0,0,1] neg_hi:[0,0,1]
	v_pk_add_f32 v[14:15], v[38:39], v[14:15]
	v_mov_b32_e32 v67, v213
	v_pk_fma_f32 v[70:71], v[40:41], s[24:25], v[218:219] neg_lo:[0,0,1] neg_hi:[0,0,1]
	;; [unrolled: 3-line block ×3, first 2 shown]
	v_pk_add_f32 v[14:15], v[66:67], v[14:15]
	v_mov_b32_e32 v75, v221
	v_pk_add_f32 v[14:15], v[70:71], v[14:15]
	v_mov_b32_e32 v195, v193
	v_pk_add_f32 v[14:15], v[74:75], v[14:15]
	v_pk_add_f32 v[66:67], v[4:5], v[194:195]
	v_mov_b32_e32 v199, v197
	ds_write2_b64 v235, v[6:7], v[14:15] offset0:10 offset1:11
	v_pk_fma_f32 v[6:7], v[22:23], s[40:41], v[174:175] neg_lo:[0,0,1] neg_hi:[0,0,1]
	v_pk_add_f32 v[66:67], v[198:199], v[66:67]
	v_mov_b32_e32 v203, v201
	v_mov_b32_e32 v7, v173
	v_pk_fma_f32 v[14:15], v[28:29], s[24:25], v[178:179] neg_lo:[0,0,1] neg_hi:[0,0,1]
	v_pk_add_f32 v[66:67], v[202:203], v[66:67]
	v_mov_b32_e32 v163, v33
	v_mov_b32_e32 v15, v177
	v_pk_fma_f32 v[18:19], v[34:35], s[50:51], v[182:183] neg_lo:[0,0,1] neg_hi:[0,0,1]
	v_pk_add_f32 v[6:7], v[6:7], v[66:67]
	v_pk_add_f32 v[32:33], v[4:5], v[162:163]
	v_mov_b32_e32 v167, v165
	v_mov_b32_e32 v19, v181
	v_pk_fma_f32 v[38:39], v[40:41], s[30:31], v[186:187] neg_lo:[0,0,1] neg_hi:[0,0,1]
	v_pk_add_f32 v[6:7], v[14:15], v[6:7]
	v_pk_fma_f32 v[14:15], v[22:23], s[6:7], v[142:143] neg_lo:[0,0,1] neg_hi:[0,0,1]
	v_pk_add_f32 v[32:33], v[166:167], v[32:33]
	v_mov_b32_e32 v171, v169
	v_mov_b32_e32 v39, v185
	v_pk_fma_f32 v[60:61], v[46:47], s[18:19], v[190:191] neg_lo:[0,0,1] neg_hi:[0,0,1]
	v_pk_add_f32 v[6:7], v[18:19], v[6:7]
	v_mov_b32_e32 v15, v141
	v_pk_fma_f32 v[18:19], v[28:29], s[40:41], v[146:147] neg_lo:[0,0,1] neg_hi:[0,0,1]
	v_pk_add_f32 v[32:33], v[170:171], v[32:33]
	v_mov_b32_e32 v61, v189
	v_pk_add_f32 v[6:7], v[38:39], v[6:7]
	v_mov_b32_e32 v19, v145
	v_pk_fma_f32 v[38:39], v[34:35], s[20:21], v[150:151] neg_lo:[0,0,1] neg_hi:[0,0,1]
	v_pk_add_f32 v[14:15], v[14:15], v[32:33]
	v_pk_add_f32 v[6:7], v[60:61], v[6:7]
	v_mov_b32_e32 v39, v149
	v_pk_fma_f32 v[60:61], v[40:41], s[42:43], v[154:155] neg_lo:[0,0,1] neg_hi:[0,0,1]
	v_pk_add_f32 v[14:15], v[18:19], v[14:15]
	v_mov_b32_e32 v61, v153
	v_pk_fma_f32 v[24:25], v[46:47], s[22:23], v[24:25] neg_lo:[0,0,1] neg_hi:[0,0,1]
	v_pk_add_f32 v[14:15], v[38:39], v[14:15]
	v_mov_b32_e32 v25, v37
	v_pk_add_f32 v[14:15], v[60:61], v[14:15]
	v_mov_b32_e32 v131, v43
	v_pk_add_f32 v[14:15], v[24:25], v[14:15]
	v_pk_fma_f32 v[24:25], v[40:41], s[10:11], v[30:31] neg_lo:[0,0,1] neg_hi:[0,0,1]
	v_pk_add_f32 v[30:31], v[4:5], v[130:131]
	v_mov_b32_e32 v135, v133
	ds_write2_b64 v235, v[6:7], v[14:15] offset0:12 offset1:13
	v_pk_fma_f32 v[6:7], v[22:23], s[28:29], v[98:99] neg_lo:[0,0,1] neg_hi:[0,0,1]
	v_pk_add_f32 v[30:31], v[134:135], v[30:31]
	v_mov_b32_e32 v139, v137
	v_mov_b32_e32 v7, v97
	v_pk_fma_f32 v[14:15], v[28:29], s[22:23], v[106:107] neg_lo:[0,0,1] neg_hi:[0,0,1]
	v_pk_add_f32 v[30:31], v[138:139], v[30:31]
	v_mov_b32_e32 v77, v49
	v_mov_b32_e32 v15, v105
	v_pk_fma_f32 v[18:19], v[34:35], s[30:31], v[116:117] neg_lo:[0,0,1] neg_hi:[0,0,1]
	v_pk_add_f32 v[6:7], v[6:7], v[30:31]
	v_pk_add_f32 v[32:33], v[4:5], v[76:77]
	v_mov_b32_e32 v81, v79
	v_mov_b32_e32 v19, v113
	v_pk_add_f32 v[6:7], v[14:15], v[6:7]
	v_pk_fma_f32 v[14:15], v[22:23], s[24:25], v[54:55] neg_lo:[0,0,1] neg_hi:[0,0,1]
	v_pk_add_f32 v[32:33], v[80:81], v[32:33]
	v_mov_b32_e32 v85, v83
	v_mov_b32_e32 v25, v119
	v_pk_fma_f32 v[26:27], v[46:47], s[20:21], v[26:27] neg_lo:[0,0,1] neg_hi:[0,0,1]
	v_pk_add_f32 v[6:7], v[18:19], v[6:7]
	v_accvgpr_read_b32 v15, a23
	v_pk_fma_f32 v[18:19], v[28:29], s[26:27], v[58:59] neg_lo:[0,0,1] neg_hi:[0,0,1]
	v_pk_add_f32 v[32:33], v[84:85], v[32:33]
	v_mov_b32_e32 v27, v45
	v_pk_add_f32 v[6:7], v[24:25], v[6:7]
	v_accvgpr_read_b32 v19, a25
	v_pk_fma_f32 v[24:25], v[34:35], s[28:29], v[64:65] neg_lo:[0,0,1] neg_hi:[0,0,1]
	v_pk_add_f32 v[14:15], v[14:15], v[32:33]
	v_pk_add_f32 v[6:7], v[26:27], v[6:7]
	v_accvgpr_read_b32 v25, a27
	v_pk_fma_f32 v[26:27], v[40:41], s[16:17], v[68:69] neg_lo:[0,0,1] neg_hi:[0,0,1]
	v_pk_add_f32 v[14:15], v[18:19], v[14:15]
	v_mov_b32_e32 v27, v57
	v_pk_fma_f32 v[30:31], v[46:47], s[6:7], v[72:73] neg_lo:[0,0,1] neg_hi:[0,0,1]
	v_pk_add_f32 v[14:15], v[24:25], v[14:15]
	v_mov_b32_e32 v31, v53
	v_pk_add_f32 v[14:15], v[26:27], v[14:15]
	v_mov_b32_e32 v161, v13
	v_pk_add_f32 v[14:15], v[30:31], v[14:15]
	ds_write2_b64 v235, v[6:7], v[14:15] offset0:14 offset1:15
	v_accvgpr_read_b32 v13, a1
	v_accvgpr_read_b32 v6, a8
	v_mov_b32_e32 v175, v17
	v_pk_add_f32 v[4:5], v[4:5], v[12:13]
	v_accvgpr_read_b32 v17, a3
	v_accvgpr_read_b32 v7, a9
	v_mov_b32_e32 v232, v21
	v_pk_add_f32 v[4:5], v[16:17], v[4:5]
	v_accvgpr_read_b32 v21, a5
	v_pk_fma_f32 v[6:7], v[22:23], s[10:11], v[6:7] neg_lo:[0,0,1] neg_hi:[0,0,1]
	v_pk_add_f32 v[4:5], v[20:21], v[4:5]
	v_accvgpr_read_b32 v7, a7
	v_pk_add_f32 v[4:5], v[6:7], v[4:5]
	v_accvgpr_read_b32 v6, a12
	v_accvgpr_read_b32 v7, a13
	v_pk_fma_f32 v[6:7], v[28:29], s[14:15], v[6:7] neg_lo:[0,0,1] neg_hi:[0,0,1]
	v_mov_b32_e32 v113, v56
	v_accvgpr_read_b32 v7, a11
	v_pk_add_f32 v[4:5], v[6:7], v[4:5]
	v_accvgpr_read_b32 v6, a16
	v_accvgpr_read_b32 v7, a17
	v_pk_fma_f32 v[6:7], v[34:35], s[18:19], v[6:7] neg_lo:[0,0,1] neg_hi:[0,0,1]
	s_nop 0
	v_accvgpr_read_b32 v7, a15
	v_pk_add_f32 v[4:5], v[6:7], v[4:5]
	v_pk_fma_f32 v[6:7], v[40:41], s[20:21], v[62:63] neg_lo:[0,0,1] neg_hi:[0,0,1]
	s_nop 0
	v_accvgpr_read_b32 v7, a19
	v_pk_add_f32 v[4:5], v[6:7], v[4:5]
	;; [unrolled: 4-line block ×3, first 2 shown]
	ds_write_b64 v235, v[4:5] offset:128
.LBB0_13:
	s_or_b64 exec, exec, s[4:5]
	s_waitcnt lgkmcnt(0)
	s_barrier
	ds_read2_b64 v[4:7], v113 offset1:17
	ds_read_b64 v[12:13], v113 offset:272
	s_mov_b32 s4, 0x3f5db3d7
	s_waitcnt lgkmcnt(1)
	v_pk_mul_f32 v[0:1], v[0:1], v[6:7]
	s_nop 0
	v_pk_fma_f32 v[14:15], v[10:11], v[6:7], v[0:1] op_sel:[0,0,1] op_sel_hi:[1,1,0]
	v_pk_fma_f32 v[0:1], v[10:11], v[6:7], v[0:1] op_sel:[0,0,1] op_sel_hi:[1,1,0] neg_lo:[0,0,1] neg_hi:[0,0,1]
	s_nop 0
	v_mov_b32_e32 v15, v1
	s_waitcnt lgkmcnt(0)
	v_pk_mul_f32 v[0:1], v[2:3], v[12:13]
	s_nop 0
	v_pk_fma_f32 v[2:3], v[8:9], v[12:13], v[0:1] op_sel:[0,0,1] op_sel_hi:[1,1,0]
	v_pk_fma_f32 v[0:1], v[8:9], v[12:13], v[0:1] op_sel:[0,0,1] op_sel_hi:[1,1,0] neg_lo:[0,0,1] neg_hi:[0,0,1]
	s_nop 0
	v_mov_b32_e32 v3, v1
	v_pk_add_f32 v[0:1], v[4:5], v[14:15]
	v_pk_add_f32 v[6:7], v[14:15], v[2:3]
	;; [unrolled: 1-line block ×3, first 2 shown]
	v_pk_add_f32 v[2:3], v[14:15], v[2:3] neg_lo:[0,1] neg_hi:[0,1]
	v_pk_fma_f32 v[4:5], -0.5, v[6:7], v[4:5] op_sel_hi:[0,1,1]
	v_pk_mul_f32 v[2:3], v[2:3], s[4:5] op_sel_hi:[1,0]
	s_nop 0
	v_pk_add_f32 v[6:7], v[4:5], v[2:3] op_sel:[0,1] op_sel_hi:[1,0] neg_lo:[0,1] neg_hi:[0,1]
	v_pk_add_f32 v[2:3], v[4:5], v[2:3] op_sel:[0,1] op_sel_hi:[1,0]
	v_mov_b32_e32 v4, v6
	v_mov_b32_e32 v5, v3
	;; [unrolled: 1-line block ×3, first 2 shown]
	ds_write2_b64 v234, v[0:1], v[4:5] offset1:17
	ds_write_b64 v234, v[2:3] offset:272
	s_waitcnt lgkmcnt(0)
	s_barrier
	s_and_b64 exec, exec, vcc
	s_cbranch_execz .LBB0_15
; %bb.14:
	global_load_dwordx2 v[2:3], v159, s[8:9]
	ds_read_b64 v[6:7], v234
	v_mad_u64_u32 v[4:5], s[4:5], s2, v158, 0
	v_mov_b32_e32 v10, v5
	v_mad_u64_u32 v[10:11], s[2:3], s3, v158, v[10:11]
	v_mov_b32_e32 v0, s12
	v_mov_b32_e32 v1, s13
	;; [unrolled: 1-line block ×3, first 2 shown]
	v_mad_u64_u32 v[8:9], s[6:7], s0, v232, 0
	v_lshl_add_u64 v[0:1], v[4:5], 3, v[0:1]
	s_mov_b32 s4, 0x14141414
	v_mov_b32_e32 v12, v9
	s_mov_b32 s5, 0x3f941414
	v_mad_u64_u32 v[12:13], s[2:3], s1, v232, v[12:13]
	v_mov_b32_e32 v9, v12
	v_lshl_add_u64 v[8:9], v[8:9], 3, v[0:1]
	v_lshl_add_u32 v12, v231, 3, v159
	s_mul_i32 s2, s1, 24
	s_mul_i32 s3, s1, 48
	s_waitcnt vmcnt(0) lgkmcnt(0)
	v_mul_f32_e32 v4, v7, v3
	v_mul_f32_e32 v3, v6, v3
	v_fmac_f32_e32 v4, v6, v2
	v_fma_f32 v5, v2, v7, -v3
	v_cvt_f64_f32_e32 v[2:3], v4
	v_cvt_f64_f32_e32 v[4:5], v5
	v_mul_f64 v[2:3], v[2:3], s[4:5]
	v_mul_f64 v[4:5], v[4:5], s[4:5]
	v_cvt_f32_f64_e32 v2, v[2:3]
	v_cvt_f32_f64_e32 v3, v[4:5]
	global_store_dwordx2 v[8:9], v[2:3], off
	global_load_dwordx2 v[6:7], v159, s[8:9] offset:24
	ds_read2_b64 v[2:5], v12 offset0:3 offset1:6
	v_mad_u64_u32 v[8:9], s[6:7], s0, 24, v[8:9]
	v_add_u32_e32 v9, s2, v9
	s_waitcnt vmcnt(0) lgkmcnt(0)
	v_mul_f32_e32 v10, v3, v7
	v_mul_f32_e32 v7, v2, v7
	v_fmac_f32_e32 v10, v2, v6
	v_fma_f32 v6, v6, v3, -v7
	v_cvt_f64_f32_e32 v[2:3], v10
	v_cvt_f64_f32_e32 v[6:7], v6
	v_mul_f64 v[2:3], v[2:3], s[4:5]
	v_mul_f64 v[6:7], v[6:7], s[4:5]
	v_cvt_f32_f64_e32 v2, v[2:3]
	v_cvt_f32_f64_e32 v3, v[6:7]
	global_store_dwordx2 v[8:9], v[2:3], off
	global_load_dwordx2 v[2:3], v159, s[8:9] offset:48
	v_mad_u64_u32 v[6:7], s[6:7], s0, 24, v[8:9]
	v_add_u32_e32 v7, s2, v7
	s_waitcnt vmcnt(0)
	v_mul_f32_e32 v8, v5, v3
	v_mul_f32_e32 v3, v4, v3
	v_fmac_f32_e32 v8, v4, v2
	v_fma_f32 v4, v2, v5, -v3
	v_cvt_f64_f32_e32 v[2:3], v8
	v_cvt_f64_f32_e32 v[4:5], v4
	v_mul_f64 v[2:3], v[2:3], s[4:5]
	v_mul_f64 v[4:5], v[4:5], s[4:5]
	v_cvt_f32_f64_e32 v2, v[2:3]
	v_cvt_f32_f64_e32 v3, v[4:5]
	global_store_dwordx2 v[6:7], v[2:3], off
	global_load_dwordx2 v[8:9], v159, s[8:9] offset:72
	ds_read2_b64 v[2:5], v12 offset0:9 offset1:12
	v_mad_u64_u32 v[6:7], s[6:7], s0, 24, v[6:7]
	v_add_u32_e32 v7, s2, v7
	s_waitcnt vmcnt(0) lgkmcnt(0)
	v_mul_f32_e32 v10, v3, v9
	v_mul_f32_e32 v9, v2, v9
	v_fmac_f32_e32 v10, v2, v8
	v_fma_f32 v8, v8, v3, -v9
	v_cvt_f64_f32_e32 v[2:3], v10
	v_cvt_f64_f32_e32 v[8:9], v8
	v_mul_f64 v[2:3], v[2:3], s[4:5]
	v_mul_f64 v[8:9], v[8:9], s[4:5]
	v_cvt_f32_f64_e32 v2, v[2:3]
	v_cvt_f32_f64_e32 v3, v[8:9]
	global_store_dwordx2 v[6:7], v[2:3], off
	global_load_dwordx2 v[2:3], v159, s[8:9] offset:96
	v_mad_u64_u32 v[8:9], s[6:7], s0, v230, 0
	v_mov_b32_e32 v10, v9
	v_mad_u64_u32 v[10:11], s[6:7], s1, v230, v[10:11]
	v_mov_b32_e32 v9, v10
	v_lshl_add_u64 v[8:9], v[8:9], 3, v[0:1]
	v_mad_u64_u32 v[6:7], s[6:7], s0, 48, v[6:7]
	v_add_u32_e32 v7, s3, v7
	s_waitcnt vmcnt(0)
	v_mul_f32_e32 v10, v5, v3
	v_mul_f32_e32 v3, v4, v3
	v_fmac_f32_e32 v10, v4, v2
	v_fma_f32 v4, v2, v5, -v3
	v_cvt_f64_f32_e32 v[2:3], v10
	v_cvt_f64_f32_e32 v[4:5], v4
	v_mul_f64 v[2:3], v[2:3], s[4:5]
	v_mul_f64 v[4:5], v[4:5], s[4:5]
	v_cvt_f32_f64_e32 v2, v[2:3]
	v_cvt_f32_f64_e32 v3, v[4:5]
	global_store_dwordx2 v[8:9], v[2:3], off
	global_load_dwordx2 v[8:9], v159, s[8:9] offset:120
	ds_read2_b64 v[2:5], v12 offset0:15 offset1:18
	s_waitcnt vmcnt(0) lgkmcnt(0)
	v_mul_f32_e32 v10, v3, v9
	v_mul_f32_e32 v9, v2, v9
	v_fmac_f32_e32 v10, v2, v8
	v_fma_f32 v8, v8, v3, -v9
	v_cvt_f64_f32_e32 v[2:3], v10
	v_cvt_f64_f32_e32 v[8:9], v8
	v_mul_f64 v[2:3], v[2:3], s[4:5]
	v_mul_f64 v[8:9], v[8:9], s[4:5]
	v_cvt_f32_f64_e32 v2, v[2:3]
	v_cvt_f32_f64_e32 v3, v[8:9]
	global_store_dwordx2 v[6:7], v[2:3], off
	global_load_dwordx2 v[2:3], v159, s[8:9] offset:144
	v_mad_u64_u32 v[6:7], s[6:7], s0, 24, v[6:7]
	v_add_u32_e32 v7, s2, v7
	s_waitcnt vmcnt(0)
	v_mul_f32_e32 v8, v5, v3
	v_mul_f32_e32 v3, v4, v3
	v_fmac_f32_e32 v8, v4, v2
	v_fma_f32 v4, v2, v5, -v3
	v_cvt_f64_f32_e32 v[2:3], v8
	v_cvt_f64_f32_e32 v[4:5], v4
	v_mul_f64 v[2:3], v[2:3], s[4:5]
	v_mul_f64 v[4:5], v[4:5], s[4:5]
	v_cvt_f32_f64_e32 v2, v[2:3]
	v_cvt_f32_f64_e32 v3, v[4:5]
	global_store_dwordx2 v[6:7], v[2:3], off
	global_load_dwordx2 v[8:9], v159, s[8:9] offset:168
	ds_read2_b64 v[2:5], v12 offset0:21 offset1:24
	v_mad_u64_u32 v[6:7], s[6:7], s0, 24, v[6:7]
	v_add_u32_e32 v7, s2, v7
	s_waitcnt vmcnt(0) lgkmcnt(0)
	v_mul_f32_e32 v10, v3, v9
	v_mul_f32_e32 v9, v2, v9
	v_fmac_f32_e32 v10, v2, v8
	v_fma_f32 v8, v8, v3, -v9
	v_cvt_f64_f32_e32 v[2:3], v10
	v_cvt_f64_f32_e32 v[8:9], v8
	v_mul_f64 v[2:3], v[2:3], s[4:5]
	v_mul_f64 v[8:9], v[8:9], s[4:5]
	v_cvt_f32_f64_e32 v2, v[2:3]
	v_cvt_f32_f64_e32 v3, v[8:9]
	global_store_dwordx2 v[6:7], v[2:3], off
	global_load_dwordx2 v[2:3], v159, s[8:9] offset:192
	v_mad_u64_u32 v[8:9], s[6:7], s0, v175, 0
	v_mov_b32_e32 v10, v9
	v_mad_u64_u32 v[10:11], s[6:7], s1, v175, v[10:11]
	v_mov_b32_e32 v9, v10
	v_lshl_add_u64 v[8:9], v[8:9], 3, v[0:1]
	v_mad_u64_u32 v[6:7], s[6:7], s0, 48, v[6:7]
	v_add_u32_e32 v7, s3, v7
	s_waitcnt vmcnt(0)
	v_mul_f32_e32 v10, v5, v3
	v_mul_f32_e32 v3, v4, v3
	v_fmac_f32_e32 v10, v4, v2
	v_fma_f32 v4, v2, v5, -v3
	v_cvt_f64_f32_e32 v[2:3], v10
	v_cvt_f64_f32_e32 v[4:5], v4
	v_mul_f64 v[2:3], v[2:3], s[4:5]
	v_mul_f64 v[4:5], v[4:5], s[4:5]
	v_cvt_f32_f64_e32 v2, v[2:3]
	v_cvt_f32_f64_e32 v3, v[4:5]
	global_store_dwordx2 v[8:9], v[2:3], off
	global_load_dwordx2 v[8:9], v159, s[8:9] offset:216
	ds_read2_b64 v[2:5], v12 offset0:27 offset1:30
	s_waitcnt vmcnt(0) lgkmcnt(0)
	v_mul_f32_e32 v10, v3, v9
	v_mul_f32_e32 v9, v2, v9
	v_fmac_f32_e32 v10, v2, v8
	v_fma_f32 v8, v8, v3, -v9
	v_cvt_f64_f32_e32 v[2:3], v10
	v_cvt_f64_f32_e32 v[8:9], v8
	v_mul_f64 v[2:3], v[2:3], s[4:5]
	v_mul_f64 v[8:9], v[8:9], s[4:5]
	v_cvt_f32_f64_e32 v2, v[2:3]
	v_cvt_f32_f64_e32 v3, v[8:9]
	global_store_dwordx2 v[6:7], v[2:3], off
	global_load_dwordx2 v[2:3], v159, s[8:9] offset:240
	v_mad_u64_u32 v[6:7], s[6:7], s0, 24, v[6:7]
	v_add_u32_e32 v7, s2, v7
	s_waitcnt vmcnt(0)
	v_mul_f32_e32 v8, v5, v3
	v_mul_f32_e32 v3, v4, v3
	v_fmac_f32_e32 v8, v4, v2
	v_fma_f32 v4, v2, v5, -v3
	v_cvt_f64_f32_e32 v[2:3], v8
	v_cvt_f64_f32_e32 v[4:5], v4
	v_mul_f64 v[2:3], v[2:3], s[4:5]
	v_mul_f64 v[4:5], v[4:5], s[4:5]
	v_cvt_f32_f64_e32 v2, v[2:3]
	v_cvt_f32_f64_e32 v3, v[4:5]
	global_store_dwordx2 v[6:7], v[2:3], off
	global_load_dwordx2 v[8:9], v159, s[8:9] offset:264
	ds_read2_b64 v[2:5], v12 offset0:33 offset1:36
	v_mad_u64_u32 v[6:7], s[6:7], s0, 24, v[6:7]
	v_add_u32_e32 v7, s2, v7
	s_waitcnt vmcnt(0) lgkmcnt(0)
	v_mul_f32_e32 v10, v3, v9
	v_mul_f32_e32 v9, v2, v9
	v_fmac_f32_e32 v10, v2, v8
	v_fma_f32 v8, v8, v3, -v9
	v_cvt_f64_f32_e32 v[2:3], v10
	v_cvt_f64_f32_e32 v[8:9], v8
	v_mul_f64 v[2:3], v[2:3], s[4:5]
	v_mul_f64 v[8:9], v[8:9], s[4:5]
	v_cvt_f32_f64_e32 v2, v[2:3]
	v_cvt_f32_f64_e32 v3, v[8:9]
	global_store_dwordx2 v[6:7], v[2:3], off
	global_load_dwordx2 v[2:3], v159, s[8:9] offset:288
	v_mad_u64_u32 v[8:9], s[6:7], s0, v161, 0
	v_mov_b32_e32 v10, v9
	v_mad_u64_u32 v[10:11], s[6:7], s1, v161, v[10:11]
	v_mov_b32_e32 v9, v10
	v_lshl_add_u64 v[8:9], v[8:9], 3, v[0:1]
	v_mad_u64_u32 v[6:7], s[6:7], s0, 48, v[6:7]
	v_add_u32_e32 v7, s3, v7
	s_waitcnt vmcnt(0)
	v_mul_f32_e32 v10, v5, v3
	v_mul_f32_e32 v3, v4, v3
	v_fmac_f32_e32 v10, v4, v2
	v_fma_f32 v4, v2, v5, -v3
	v_cvt_f64_f32_e32 v[2:3], v10
	v_cvt_f64_f32_e32 v[4:5], v4
	v_mul_f64 v[2:3], v[2:3], s[4:5]
	v_mul_f64 v[4:5], v[4:5], s[4:5]
	v_cvt_f32_f64_e32 v2, v[2:3]
	v_cvt_f32_f64_e32 v3, v[4:5]
	global_store_dwordx2 v[8:9], v[2:3], off
	global_load_dwordx2 v[8:9], v159, s[8:9] offset:312
	ds_read2_b64 v[2:5], v12 offset0:39 offset1:42
	s_waitcnt vmcnt(0) lgkmcnt(0)
	v_mul_f32_e32 v10, v3, v9
	v_mul_f32_e32 v9, v2, v9
	v_fmac_f32_e32 v10, v2, v8
	v_fma_f32 v8, v8, v3, -v9
	v_cvt_f64_f32_e32 v[2:3], v10
	v_cvt_f64_f32_e32 v[8:9], v8
	v_mul_f64 v[2:3], v[2:3], s[4:5]
	v_mul_f64 v[8:9], v[8:9], s[4:5]
	v_cvt_f32_f64_e32 v2, v[2:3]
	v_cvt_f32_f64_e32 v3, v[8:9]
	global_store_dwordx2 v[6:7], v[2:3], off
	global_load_dwordx2 v[2:3], v159, s[8:9] offset:336
	v_mad_u64_u32 v[6:7], s[6:7], s0, 24, v[6:7]
	v_add_u32_e32 v7, s2, v7
	s_waitcnt vmcnt(0)
	v_mul_f32_e32 v8, v5, v3
	v_mul_f32_e32 v3, v4, v3
	v_fmac_f32_e32 v8, v4, v2
	v_fma_f32 v4, v2, v5, -v3
	v_cvt_f64_f32_e32 v[2:3], v8
	v_cvt_f64_f32_e32 v[4:5], v4
	v_mul_f64 v[2:3], v[2:3], s[4:5]
	v_mul_f64 v[4:5], v[4:5], s[4:5]
	v_cvt_f32_f64_e32 v2, v[2:3]
	v_cvt_f32_f64_e32 v3, v[4:5]
	global_store_dwordx2 v[6:7], v[2:3], off
	global_load_dwordx2 v[8:9], v159, s[8:9] offset:360
	ds_read2_b64 v[2:5], v12 offset0:45 offset1:48
	v_mad_u64_u32 v[6:7], s[6:7], s0, 24, v[6:7]
	v_add_u32_e32 v7, s2, v7
	s_waitcnt vmcnt(0) lgkmcnt(0)
	v_mul_f32_e32 v10, v3, v9
	v_mul_f32_e32 v9, v2, v9
	v_fmac_f32_e32 v10, v2, v8
	v_fma_f32 v8, v8, v3, -v9
	v_cvt_f64_f32_e32 v[2:3], v10
	v_cvt_f64_f32_e32 v[8:9], v8
	v_mul_f64 v[2:3], v[2:3], s[4:5]
	v_mul_f64 v[8:9], v[8:9], s[4:5]
	v_cvt_f32_f64_e32 v2, v[2:3]
	v_cvt_f32_f64_e32 v3, v[8:9]
	global_store_dwordx2 v[6:7], v[2:3], off
	global_load_dwordx2 v[2:3], v159, s[8:9] offset:384
	v_mad_u64_u32 v[6:7], s[2:3], s0, v160, 0
	v_mov_b32_e32 v8, v7
	v_mad_u64_u32 v[8:9], s[0:1], s1, v160, v[8:9]
	v_mov_b32_e32 v7, v8
	v_lshl_add_u64 v[0:1], v[6:7], 3, v[0:1]
	s_waitcnt vmcnt(0)
	v_mul_f32_e32 v8, v5, v3
	v_mul_f32_e32 v3, v4, v3
	v_fmac_f32_e32 v8, v4, v2
	v_fma_f32 v4, v2, v5, -v3
	v_cvt_f64_f32_e32 v[2:3], v8
	v_cvt_f64_f32_e32 v[4:5], v4
	v_mul_f64 v[2:3], v[2:3], s[4:5]
	v_mul_f64 v[4:5], v[4:5], s[4:5]
	v_cvt_f32_f64_e32 v2, v[2:3]
	v_cvt_f32_f64_e32 v3, v[4:5]
	global_store_dwordx2 v[0:1], v[2:3], off
.LBB0_15:
	s_endpgm
	.section	.rodata,"a",@progbits
	.p2align	6, 0x0
	.amdhsa_kernel bluestein_single_fwd_len51_dim1_sp_op_CI_CI
		.amdhsa_group_segment_fixed_size 6120
		.amdhsa_private_segment_fixed_size 0
		.amdhsa_kernarg_size 104
		.amdhsa_user_sgpr_count 2
		.amdhsa_user_sgpr_dispatch_ptr 0
		.amdhsa_user_sgpr_queue_ptr 0
		.amdhsa_user_sgpr_kernarg_segment_ptr 1
		.amdhsa_user_sgpr_dispatch_id 0
		.amdhsa_user_sgpr_kernarg_preload_length 0
		.amdhsa_user_sgpr_kernarg_preload_offset 0
		.amdhsa_user_sgpr_private_segment_size 0
		.amdhsa_uses_dynamic_stack 0
		.amdhsa_enable_private_segment 0
		.amdhsa_system_sgpr_workgroup_id_x 1
		.amdhsa_system_sgpr_workgroup_id_y 0
		.amdhsa_system_sgpr_workgroup_id_z 0
		.amdhsa_system_sgpr_workgroup_info 0
		.amdhsa_system_vgpr_workitem_id 0
		.amdhsa_next_free_vgpr 284
		.amdhsa_next_free_sgpr 70
		.amdhsa_accum_offset 256
		.amdhsa_reserve_vcc 1
		.amdhsa_float_round_mode_32 0
		.amdhsa_float_round_mode_16_64 0
		.amdhsa_float_denorm_mode_32 3
		.amdhsa_float_denorm_mode_16_64 3
		.amdhsa_dx10_clamp 1
		.amdhsa_ieee_mode 1
		.amdhsa_fp16_overflow 0
		.amdhsa_tg_split 0
		.amdhsa_exception_fp_ieee_invalid_op 0
		.amdhsa_exception_fp_denorm_src 0
		.amdhsa_exception_fp_ieee_div_zero 0
		.amdhsa_exception_fp_ieee_overflow 0
		.amdhsa_exception_fp_ieee_underflow 0
		.amdhsa_exception_fp_ieee_inexact 0
		.amdhsa_exception_int_div_zero 0
	.end_amdhsa_kernel
	.text
.Lfunc_end0:
	.size	bluestein_single_fwd_len51_dim1_sp_op_CI_CI, .Lfunc_end0-bluestein_single_fwd_len51_dim1_sp_op_CI_CI
                                        ; -- End function
	.section	.AMDGPU.csdata,"",@progbits
; Kernel info:
; codeLenInByte = 13408
; NumSgprs: 76
; NumVgprs: 256
; NumAgprs: 28
; TotalNumVgprs: 284
; ScratchSize: 0
; MemoryBound: 0
; FloatMode: 240
; IeeeMode: 1
; LDSByteSize: 6120 bytes/workgroup (compile time only)
; SGPRBlocks: 9
; VGPRBlocks: 35
; NumSGPRsForWavesPerEU: 76
; NumVGPRsForWavesPerEU: 284
; AccumOffset: 256
; Occupancy: 1
; WaveLimiterHint : 1
; COMPUTE_PGM_RSRC2:SCRATCH_EN: 0
; COMPUTE_PGM_RSRC2:USER_SGPR: 2
; COMPUTE_PGM_RSRC2:TRAP_HANDLER: 0
; COMPUTE_PGM_RSRC2:TGID_X_EN: 1
; COMPUTE_PGM_RSRC2:TGID_Y_EN: 0
; COMPUTE_PGM_RSRC2:TGID_Z_EN: 0
; COMPUTE_PGM_RSRC2:TIDIG_COMP_CNT: 0
; COMPUTE_PGM_RSRC3_GFX90A:ACCUM_OFFSET: 63
; COMPUTE_PGM_RSRC3_GFX90A:TG_SPLIT: 0
	.text
	.p2alignl 6, 3212836864
	.fill 256, 4, 3212836864
	.type	__hip_cuid_b817f9136a825547,@object ; @__hip_cuid_b817f9136a825547
	.section	.bss,"aw",@nobits
	.globl	__hip_cuid_b817f9136a825547
__hip_cuid_b817f9136a825547:
	.byte	0                               ; 0x0
	.size	__hip_cuid_b817f9136a825547, 1

	.ident	"AMD clang version 19.0.0git (https://github.com/RadeonOpenCompute/llvm-project roc-6.4.0 25133 c7fe45cf4b819c5991fe208aaa96edf142730f1d)"
	.section	".note.GNU-stack","",@progbits
	.addrsig
	.addrsig_sym __hip_cuid_b817f9136a825547
	.amdgpu_metadata
---
amdhsa.kernels:
  - .agpr_count:     28
    .args:
      - .actual_access:  read_only
        .address_space:  global
        .offset:         0
        .size:           8
        .value_kind:     global_buffer
      - .actual_access:  read_only
        .address_space:  global
        .offset:         8
        .size:           8
        .value_kind:     global_buffer
      - .actual_access:  read_only
        .address_space:  global
        .offset:         16
        .size:           8
        .value_kind:     global_buffer
      - .actual_access:  read_only
        .address_space:  global
        .offset:         24
        .size:           8
        .value_kind:     global_buffer
      - .actual_access:  read_only
        .address_space:  global
        .offset:         32
        .size:           8
        .value_kind:     global_buffer
      - .offset:         40
        .size:           8
        .value_kind:     by_value
      - .address_space:  global
        .offset:         48
        .size:           8
        .value_kind:     global_buffer
      - .address_space:  global
        .offset:         56
        .size:           8
        .value_kind:     global_buffer
      - .address_space:  global
        .offset:         64
        .size:           8
        .value_kind:     global_buffer
      - .address_space:  global
        .offset:         72
        .size:           8
        .value_kind:     global_buffer
      - .offset:         80
        .size:           4
        .value_kind:     by_value
      - .address_space:  global
        .offset:         88
        .size:           8
        .value_kind:     global_buffer
      - .address_space:  global
        .offset:         96
        .size:           8
        .value_kind:     global_buffer
    .group_segment_fixed_size: 6120
    .kernarg_segment_align: 8
    .kernarg_segment_size: 104
    .language:       OpenCL C
    .language_version:
      - 2
      - 0
    .max_flat_workgroup_size: 255
    .name:           bluestein_single_fwd_len51_dim1_sp_op_CI_CI
    .private_segment_fixed_size: 0
    .sgpr_count:     76
    .sgpr_spill_count: 0
    .symbol:         bluestein_single_fwd_len51_dim1_sp_op_CI_CI.kd
    .uniform_work_group_size: 1
    .uses_dynamic_stack: false
    .vgpr_count:     284
    .vgpr_spill_count: 0
    .wavefront_size: 64
amdhsa.target:   amdgcn-amd-amdhsa--gfx950
amdhsa.version:
  - 1
  - 2
...

	.end_amdgpu_metadata
